;; amdgpu-corpus repo=ROCm/rocFFT kind=compiled arch=gfx906 opt=O3
	.text
	.amdgcn_target "amdgcn-amd-amdhsa--gfx906"
	.amdhsa_code_object_version 6
	.protected	bluestein_single_fwd_len468_dim1_sp_op_CI_CI ; -- Begin function bluestein_single_fwd_len468_dim1_sp_op_CI_CI
	.globl	bluestein_single_fwd_len468_dim1_sp_op_CI_CI
	.p2align	8
	.type	bluestein_single_fwd_len468_dim1_sp_op_CI_CI,@function
bluestein_single_fwd_len468_dim1_sp_op_CI_CI: ; @bluestein_single_fwd_len468_dim1_sp_op_CI_CI
; %bb.0:
	s_load_dwordx4 s[0:3], s[4:5], 0x28
	v_mul_u32_u24_e32 v1, 0x4ed, v0
	v_add_u32_sdwa v58, s6, v1 dst_sel:DWORD dst_unused:UNUSED_PAD src0_sel:DWORD src1_sel:WORD_1
	v_mov_b32_e32 v59, 0
	s_waitcnt lgkmcnt(0)
	v_cmp_gt_u64_e32 vcc, s[0:1], v[58:59]
	s_and_saveexec_b64 s[0:1], vcc
	s_cbranch_execz .LBB0_23
; %bb.1:
	s_load_dwordx2 s[8:9], s[4:5], 0x0
	s_load_dwordx2 s[10:11], s[4:5], 0x38
	v_mov_b32_e32 v2, 52
	v_mul_lo_u16_sdwa v1, v1, v2 dst_sel:DWORD dst_unused:UNUSED_PAD src0_sel:WORD_1 src1_sel:DWORD
	v_sub_u16_e32 v68, v0, v1
	v_cmp_gt_u16_e32 vcc, 36, v68
	v_lshlrev_b32_e32 v67, 3, v68
	s_and_saveexec_b64 s[6:7], vcc
	s_cbranch_execz .LBB0_3
; %bb.2:
	s_load_dwordx2 s[0:1], s[4:5], 0x18
	s_waitcnt lgkmcnt(0)
	s_load_dwordx4 s[12:15], s[0:1], 0x0
	s_waitcnt lgkmcnt(0)
	v_mad_u64_u32 v[0:1], s[0:1], s14, v58, 0
	v_mad_u64_u32 v[2:3], s[0:1], s12, v68, 0
	;; [unrolled: 1-line block ×4, first 2 shown]
	v_mov_b32_e32 v1, v4
	v_lshlrev_b64 v[0:1], 3, v[0:1]
	v_mov_b32_e32 v3, v5
	v_mov_b32_e32 v6, s3
	v_lshlrev_b64 v[2:3], 3, v[2:3]
	v_add_co_u32_e64 v0, s[0:1], s2, v0
	v_addc_co_u32_e64 v1, s[0:1], v6, v1, s[0:1]
	v_add_co_u32_e64 v0, s[0:1], v0, v2
	v_addc_co_u32_e64 v1, s[0:1], v1, v3, s[0:1]
	s_mul_i32 s0, s13, 0x120
	s_mul_hi_u32 s3, s12, 0x120
	s_add_i32 s3, s3, s0
	s_mul_i32 s2, s12, 0x120
	v_mov_b32_e32 v3, s3
	v_add_co_u32_e64 v2, s[0:1], s2, v0
	v_addc_co_u32_e64 v3, s[0:1], v1, v3, s[0:1]
	v_mov_b32_e32 v5, s3
	v_add_co_u32_e64 v4, s[0:1], s2, v2
	v_addc_co_u32_e64 v5, s[0:1], v3, v5, s[0:1]
	;; [unrolled: 3-line block ×3, first 2 shown]
	global_load_dwordx2 v[8:9], v67, s[8:9]
	global_load_dwordx2 v[10:11], v67, s[8:9] offset:288
	global_load_dwordx2 v[12:13], v67, s[8:9] offset:576
	;; [unrolled: 1-line block ×3, first 2 shown]
	global_load_dwordx2 v[16:17], v[0:1], off
	global_load_dwordx2 v[18:19], v[2:3], off
	;; [unrolled: 1-line block ×4, first 2 shown]
	global_load_dwordx2 v[24:25], v67, s[8:9] offset:1152
	global_load_dwordx2 v[26:27], v67, s[8:9] offset:1440
	;; [unrolled: 1-line block ×4, first 2 shown]
	v_mov_b32_e32 v1, s3
	v_add_co_u32_e64 v0, s[0:1], s2, v6
	v_addc_co_u32_e64 v1, s[0:1], v7, v1, s[0:1]
	v_mov_b32_e32 v4, s3
	global_load_dwordx2 v[2:3], v[0:1], off
	v_add_co_u32_e64 v0, s[0:1], s2, v0
	v_addc_co_u32_e64 v1, s[0:1], v1, v4, s[0:1]
	v_mov_b32_e32 v32, s3
	global_load_dwordx2 v[4:5], v[0:1], off
	v_add_co_u32_e64 v0, s[0:1], s2, v0
	v_addc_co_u32_e64 v1, s[0:1], v1, v32, s[0:1]
	v_mov_b32_e32 v33, s3
	global_load_dwordx2 v[6:7], v[0:1], off
	v_add_co_u32_e64 v0, s[0:1], s2, v0
	v_addc_co_u32_e64 v1, s[0:1], v1, v33, s[0:1]
	v_mov_b32_e32 v34, s3
	global_load_dwordx2 v[32:33], v[0:1], off
	v_add_co_u32_e64 v0, s[0:1], s2, v0
	v_addc_co_u32_e64 v1, s[0:1], v1, v34, s[0:1]
	v_mov_b32_e32 v36, s3
	global_load_dwordx2 v[34:35], v[0:1], off
	v_add_co_u32_e64 v0, s[0:1], s2, v0
	v_addc_co_u32_e64 v1, s[0:1], v1, v36, s[0:1]
	global_load_dwordx2 v[36:37], v[0:1], off
	v_mov_b32_e32 v40, s3
	v_add_co_u32_e64 v0, s[0:1], s2, v0
	v_addc_co_u32_e64 v1, s[0:1], v1, v40, s[0:1]
	global_load_dwordx2 v[38:39], v67, s[8:9] offset:2304
	global_load_dwordx2 v[40:41], v[0:1], off
	global_load_dwordx2 v[42:43], v67, s[8:9] offset:2592
	v_mov_b32_e32 v44, s3
	v_add_co_u32_e64 v0, s[0:1], s2, v0
	v_addc_co_u32_e64 v1, s[0:1], v1, v44, s[0:1]
	global_load_dwordx2 v[44:45], v67, s[8:9] offset:2880
	global_load_dwordx2 v[46:47], v[0:1], off
	v_mov_b32_e32 v50, s3
	global_load_dwordx2 v[48:49], v67, s[8:9] offset:3168
	v_add_co_u32_e64 v0, s[0:1], s2, v0
	v_addc_co_u32_e64 v1, s[0:1], v1, v50, s[0:1]
	global_load_dwordx2 v[50:51], v[0:1], off
	global_load_dwordx2 v[52:53], v67, s[8:9] offset:3456
	s_waitcnt vmcnt(21)
	v_mul_f32_e32 v0, v16, v9
	v_fma_f32 v1, v17, v8, -v0
	v_mul_f32_e32 v0, v17, v9
	v_fmac_f32_e32 v0, v16, v8
	s_waitcnt vmcnt(20)
	v_mul_f32_e32 v8, v19, v11
	v_mul_f32_e32 v9, v18, v11
	v_fmac_f32_e32 v8, v18, v10
	v_fma_f32 v9, v19, v10, -v9
	s_waitcnt vmcnt(19)
	v_mul_f32_e32 v10, v21, v13
	v_mul_f32_e32 v11, v20, v13
	ds_write2_b64 v67, v[0:1], v[8:9] offset1:36
	s_waitcnt vmcnt(18)
	v_mul_f32_e32 v0, v23, v15
	v_mul_f32_e32 v1, v22, v15
	v_fmac_f32_e32 v10, v20, v12
	v_fma_f32 v11, v21, v12, -v11
	v_fmac_f32_e32 v0, v22, v14
	v_fma_f32 v1, v23, v14, -v1
	ds_write2_b64 v67, v[10:11], v[0:1] offset0:72 offset1:108
	s_waitcnt vmcnt(13)
	v_mul_f32_e32 v0, v3, v25
	v_mul_f32_e32 v1, v2, v25
	v_fmac_f32_e32 v0, v2, v24
	v_fma_f32 v1, v3, v24, -v1
	s_waitcnt vmcnt(12)
	v_mul_f32_e32 v2, v5, v27
	v_mul_f32_e32 v3, v4, v27
	v_fmac_f32_e32 v2, v4, v26
	v_fma_f32 v3, v5, v26, -v3
	ds_write2_b64 v67, v[0:1], v[2:3] offset0:144 offset1:180
	s_waitcnt vmcnt(11)
	v_mul_f32_e32 v0, v7, v29
	v_mul_f32_e32 v1, v6, v29
	v_fmac_f32_e32 v0, v6, v28
	v_fma_f32 v1, v7, v28, -v1
	v_add_u32_e32 v4, 0x800, v67
	s_waitcnt vmcnt(10)
	v_mul_f32_e32 v2, v33, v31
	v_mul_f32_e32 v3, v32, v31
	v_fmac_f32_e32 v2, v32, v30
	v_fma_f32 v3, v33, v30, -v3
	ds_write2_b64 v67, v[0:1], v[2:3] offset0:216 offset1:252
	s_waitcnt vmcnt(7)
	v_mul_f32_e32 v0, v35, v39
	v_mul_f32_e32 v1, v34, v39
	s_waitcnt vmcnt(5)
	v_mul_f32_e32 v2, v37, v43
	v_mul_f32_e32 v3, v36, v43
	v_fmac_f32_e32 v0, v34, v38
	v_fma_f32 v1, v35, v38, -v1
	v_fmac_f32_e32 v2, v36, v42
	v_fma_f32 v3, v37, v42, -v3
	ds_write2_b64 v4, v[0:1], v[2:3] offset0:32 offset1:68
	s_waitcnt vmcnt(4)
	v_mul_f32_e32 v0, v41, v45
	v_mul_f32_e32 v1, v40, v45
	s_waitcnt vmcnt(2)
	v_mul_f32_e32 v2, v47, v49
	v_mul_f32_e32 v3, v46, v49
	v_fmac_f32_e32 v0, v40, v44
	v_fma_f32 v1, v41, v44, -v1
	v_fmac_f32_e32 v2, v46, v48
	v_fma_f32 v3, v47, v48, -v3
	ds_write2_b64 v4, v[0:1], v[2:3] offset0:104 offset1:140
	s_waitcnt vmcnt(0)
	v_mul_f32_e32 v0, v51, v53
	v_mul_f32_e32 v1, v50, v53
	v_fmac_f32_e32 v0, v50, v52
	v_fma_f32 v1, v51, v52, -v1
	ds_write_b64 v67, v[0:1] offset:3456
.LBB0_3:
	s_or_b64 exec, exec, s[6:7]
	s_load_dwordx2 s[0:1], s[4:5], 0x20
	s_load_dwordx2 s[2:3], s[4:5], 0x8
	v_mov_b32_e32 v0, 0
	v_mov_b32_e32 v1, 0
	s_waitcnt lgkmcnt(0)
	; wave barrier
	s_waitcnt lgkmcnt(0)
                                        ; implicit-def: $vgpr6
                                        ; implicit-def: $vgpr18
                                        ; implicit-def: $vgpr24
                                        ; implicit-def: $vgpr22
                                        ; implicit-def: $vgpr14
                                        ; implicit-def: $vgpr10
	s_and_saveexec_b64 s[4:5], vcc
	s_cbranch_execz .LBB0_5
; %bb.4:
	ds_read2_b64 v[0:3], v67 offset1:36
	ds_read2_b64 v[8:11], v67 offset0:72 offset1:108
	ds_read2_b64 v[12:15], v67 offset0:144 offset1:180
	;; [unrolled: 1-line block ×3, first 2 shown]
	v_add_u32_e32 v16, 0x800, v67
	ds_read2_b64 v[20:23], v16 offset0:32 offset1:68
	ds_read2_b64 v[16:19], v16 offset0:104 offset1:140
	ds_read_b64 v[24:25], v67 offset:3456
.LBB0_5:
	s_or_b64 exec, exec, s[4:5]
	s_waitcnt lgkmcnt(0)
	v_sub_f32_e32 v63, v3, v25
	v_mul_f32_e32 v36, 0xbeedf032, v63
	v_sub_f32_e32 v77, v9, v19
	v_add_f32_e32 v26, v24, v2
	v_sub_f32_e32 v56, v2, v24
	v_mov_b32_e32 v28, v36
	v_mul_f32_e32 v39, 0xbf52af12, v77
	v_add_f32_e32 v27, v25, v3
	s_mov_b32 s6, 0x3f62ad3f
	v_mul_f32_e32 v38, 0xbeedf032, v56
	v_fmac_f32_e32 v28, 0x3f62ad3f, v26
	v_add_f32_e32 v32, v18, v8
	v_sub_f32_e32 v70, v8, v18
	v_mov_b32_e32 v30, v39
	v_add_f32_e32 v28, v28, v0
	v_fma_f32 v29, v27, s6, -v38
	s_mov_b32 s7, 0x3f116cb1
	v_add_f32_e32 v33, v19, v9
	v_mul_f32_e32 v42, 0xbf52af12, v70
	v_fmac_f32_e32 v30, 0x3f116cb1, v32
	v_sub_f32_e32 v79, v11, v17
	v_add_f32_e32 v29, v29, v1
	v_add_f32_e32 v28, v30, v28
	v_fma_f32 v30, v33, s7, -v42
	v_mul_f32_e32 v43, 0xbf7e222b, v79
	v_add_f32_e32 v29, v30, v29
	v_add_f32_e32 v37, v16, v10
	v_mov_b32_e32 v30, v43
	v_sub_f32_e32 v78, v10, v16
	v_fmac_f32_e32 v30, 0x3df6dbef, v37
	s_mov_b32 s12, 0x3df6dbef
	v_add_f32_e32 v40, v17, v11
	v_mul_f32_e32 v46, 0xbf7e222b, v78
	v_sub_f32_e32 v87, v13, v23
	v_add_f32_e32 v28, v30, v28
	v_fma_f32 v30, v40, s12, -v46
	v_mul_f32_e32 v47, 0xbf6f5d39, v87
	v_add_f32_e32 v29, v30, v29
	v_add_f32_e32 v41, v22, v12
	v_mov_b32_e32 v30, v47
	v_sub_f32_e32 v86, v12, v22
	v_fmac_f32_e32 v30, 0xbeb58ec6, v41
	s_mov_b32 s13, 0xbeb58ec6
	v_add_f32_e32 v44, v23, v13
	v_mul_f32_e32 v50, 0xbf6f5d39, v86
	v_sub_f32_e32 v93, v15, v21
	;; [unrolled: 12-line block ×3, first 2 shown]
	v_add_f32_e32 v28, v30, v28
	v_fma_f32 v30, v48, s14, -v53
	v_mul_f32_e32 v54, 0xbe750f2a, v97
	v_add_f32_e32 v29, v30, v29
	v_add_f32_e32 v49, v6, v4
	v_mov_b32_e32 v30, v54
	v_sub_f32_e32 v96, v4, v6
	s_mov_b32 s15, 0xbf788fa5
	v_fmac_f32_e32 v30, 0xbf788fa5, v49
	v_add_f32_e32 v52, v7, v5
	v_mul_f32_e32 v55, 0xbe750f2a, v96
	v_add_f32_e32 v59, v30, v28
	v_fma_f32 v28, v52, s15, -v55
	v_mul_f32_e32 v57, 0xbf52af12, v63
	v_add_f32_e32 v60, v28, v29
	v_mov_b32_e32 v28, v57
	v_mul_f32_e32 v61, 0xbf6f5d39, v77
	v_fmac_f32_e32 v28, 0x3f116cb1, v26
	v_mov_b32_e32 v29, v61
	v_add_f32_e32 v28, v28, v0
	v_fmac_f32_e32 v29, 0xbeb58ec6, v32
	v_mul_f32_e32 v66, 0xbf52af12, v56
	v_add_f32_e32 v28, v29, v28
	v_fma_f32 v29, v27, s7, -v66
	v_mul_f32_e32 v71, 0xbf6f5d39, v70
	v_add_f32_e32 v29, v29, v1
	v_fma_f32 v30, v33, s13, -v71
	v_mul_f32_e32 v62, 0xbe750f2a, v79
	v_add_f32_e32 v29, v30, v29
	v_mov_b32_e32 v30, v62
	v_fmac_f32_e32 v30, 0xbf788fa5, v37
	v_mul_f32_e32 v73, 0xbe750f2a, v78
	v_add_f32_e32 v28, v30, v28
	v_fma_f32 v30, v40, s15, -v73
	v_mul_f32_e32 v64, 0x3f29c268, v87
	v_add_f32_e32 v29, v30, v29
	v_mov_b32_e32 v30, v64
	v_fmac_f32_e32 v30, 0xbf3f9e67, v41
	;; [unrolled: 7-line block ×4, first 2 shown]
	v_mul_f32_e32 v76, 0x3eedf032, v96
	v_mul_f32_e32 v84, 0xbf7e222b, v63
	v_fma_f32 v31, v52, s6, -v76
	v_add_f32_e32 v30, v30, v28
	v_mov_b32_e32 v28, v84
	v_mul_f32_e32 v85, 0xbe750f2a, v77
	v_add_f32_e32 v31, v31, v29
	v_fmac_f32_e32 v28, 0x3df6dbef, v26
	v_mov_b32_e32 v29, v85
	v_add_f32_e32 v28, v28, v0
	v_fmac_f32_e32 v29, 0xbf788fa5, v32
	v_mul_f32_e32 v83, 0x3f6f5d39, v79
	v_add_f32_e32 v28, v29, v28
	v_mov_b32_e32 v29, v83
	v_fmac_f32_e32 v29, 0xbeb58ec6, v37
	v_mul_f32_e32 v82, 0x3eedf032, v87
	v_add_f32_e32 v28, v29, v28
	v_mov_b32_e32 v29, v82
	;; [unrolled: 4-line block ×4, first 2 shown]
	v_fmac_f32_e32 v29, 0xbf3f9e67, v49
	v_mul_f32_e32 v95, 0xbf7e222b, v56
	v_add_f32_e32 v28, v29, v28
	v_fma_f32 v29, v27, s12, -v95
	v_mul_f32_e32 v94, 0xbe750f2a, v70
	v_add_f32_e32 v29, v29, v1
	v_fma_f32 v34, v33, s15, -v94
	;; [unrolled: 3-line block ×6, first 2 shown]
	v_mul_f32_e32 v98, 0xbf6f5d39, v63
	v_add_f32_e32 v29, v34, v29
	v_mov_b32_e32 v34, v98
	v_mul_f32_e32 v99, 0x3f29c268, v77
	v_fmac_f32_e32 v34, 0xbeb58ec6, v26
	v_mov_b32_e32 v35, v99
	v_add_f32_e32 v34, v34, v0
	v_fmac_f32_e32 v35, 0xbf3f9e67, v32
	v_mul_f32_e32 v104, 0xbf6f5d39, v56
	v_add_f32_e32 v34, v35, v34
	v_fma_f32 v35, v27, s13, -v104
	v_mul_f32_e32 v105, 0x3f29c268, v70
	v_add_f32_e32 v35, v35, v1
	v_fma_f32 v69, v33, s14, -v105
	v_mul_f32_e32 v100, 0x3eedf032, v79
	v_add_f32_e32 v35, v69, v35
	v_mov_b32_e32 v69, v100
	v_fmac_f32_e32 v69, 0x3f62ad3f, v37
	v_mul_f32_e32 v106, 0x3eedf032, v78
	v_add_f32_e32 v34, v69, v34
	v_fma_f32 v69, v40, s6, -v106
	v_mul_f32_e32 v101, 0xbf7e222b, v87
	v_add_f32_e32 v35, v69, v35
	v_mov_b32_e32 v69, v101
	v_fmac_f32_e32 v69, 0x3df6dbef, v41
	;; [unrolled: 7-line block ×3, first 2 shown]
	v_mul_f32_e32 v108, 0x3e750f2a, v88
	v_add_f32_e32 v34, v69, v34
	v_fma_f32 v69, v48, s15, -v108
	v_mul_f32_e32 v103, 0x3f52af12, v97
	v_add_f32_e32 v35, v69, v35
	v_mov_b32_e32 v69, v103
	v_mul_f32_e32 v109, 0x3f52af12, v96
	v_fmac_f32_e32 v69, 0x3f116cb1, v49
	v_fma_f32 v110, v52, s7, -v109
	v_add_f32_e32 v34, v69, v34
	v_add_f32_e32 v35, v110, v35
	v_mul_lo_u16_e32 v69, 13, v68
	s_waitcnt lgkmcnt(0)
	; wave barrier
	s_and_saveexec_b64 s[4:5], vcc
	s_cbranch_execz .LBB0_7
; %bb.6:
	v_mul_f32_e32 v114, 0xbf3f9e67, v27
	v_mov_b32_e32 v110, v114
	v_mul_f32_e32 v115, 0x3df6dbef, v33
	v_fmac_f32_e32 v110, 0x3f29c268, v56
	v_mov_b32_e32 v111, v115
	v_add_f32_e32 v110, v110, v1
	v_fmac_f32_e32 v111, 0xbf7e222b, v70
	v_mul_f32_e32 v116, 0x3f116cb1, v40
	v_add_f32_e32 v110, v111, v110
	v_mov_b32_e32 v111, v116
	v_fmac_f32_e32 v111, 0x3f52af12, v78
	v_mul_f32_e32 v117, 0xbf788fa5, v44
	v_add_f32_e32 v110, v111, v110
	v_mov_b32_e32 v111, v117
	;; [unrolled: 4-line block ×4, first 2 shown]
	v_mul_f32_e32 v120, 0x3f7e222b, v77
	v_fmac_f32_e32 v111, 0xbf3f9e67, v26
	v_mov_b32_e32 v112, v120
	v_add_f32_e32 v111, v111, v0
	v_fmac_f32_e32 v112, 0x3df6dbef, v32
	v_mul_f32_e32 v121, 0xbf52af12, v79
	v_add_f32_e32 v111, v112, v111
	v_mov_b32_e32 v112, v121
	v_fmac_f32_e32 v112, 0x3f116cb1, v37
	v_mul_f32_e32 v122, 0x3e750f2a, v87
	v_add_f32_e32 v111, v112, v111
	v_mov_b32_e32 v112, v122
	v_fmac_f32_e32 v112, 0xbf788fa5, v41
	v_mul_f32_e32 v123, 0x3eedf032, v93
	v_add_f32_e32 v111, v112, v111
	v_mov_b32_e32 v112, v123
	v_fmac_f32_e32 v112, 0x3f62ad3f, v45
	v_mul_f32_e32 v124, 0xbeb58ec6, v52
	v_add_f32_e32 v112, v112, v111
	v_mov_b32_e32 v111, v124
	v_fmac_f32_e32 v111, 0x3f6f5d39, v96
	v_mul_f32_e32 v125, 0xbf6f5d39, v97
	v_add_f32_e32 v111, v111, v110
	v_mov_b32_e32 v110, v125
	v_fmac_f32_e32 v110, 0xbeb58ec6, v49
	v_mul_f32_e32 v126, 0xbe750f2a, v56
	v_add_f32_e32 v110, v110, v112
	v_mov_b32_e32 v112, v126
	v_mul_f32_e32 v127, 0x3eedf032, v70
	v_fmac_f32_e32 v112, 0xbf788fa5, v27
	v_mov_b32_e32 v113, v127
	v_add_f32_e32 v112, v112, v1
	v_fmac_f32_e32 v113, 0x3f62ad3f, v33
	v_mul_f32_e32 v128, 0xbf29c268, v78
	v_mul_f32_e32 v131, 0xbe750f2a, v63
	v_add_f32_e32 v112, v113, v112
	v_mov_b32_e32 v113, v128
	v_fma_f32 v63, v26, s15, -v131
	v_mul_f32_e32 v132, 0x3eedf032, v77
	v_fmac_f32_e32 v113, 0xbf3f9e67, v40
	v_mul_f32_e32 v129, 0x3f52af12, v86
	v_add_f32_e32 v63, v63, v0
	v_fma_f32 v77, v32, s6, -v132
	v_mul_f32_e32 v133, 0xbf29c268, v79
	v_add_f32_e32 v112, v113, v112
	v_mov_b32_e32 v113, v129
	v_add_f32_e32 v63, v77, v63
	v_fma_f32 v77, v37, s14, -v133
	v_mul_f32_e32 v134, 0x3f52af12, v87
	v_fmac_f32_e32 v113, 0x3f116cb1, v44
	v_mul_f32_e32 v130, 0xbf6f5d39, v88
	v_add_f32_e32 v63, v77, v63
	v_fma_f32 v77, v41, s7, -v134
	v_mul_f32_e32 v93, 0xbf6f5d39, v93
	v_add_f32_e32 v112, v113, v112
	v_mov_b32_e32 v113, v130
	v_add_f32_e32 v63, v77, v63
	v_fma_f32 v77, v45, s13, -v93
	v_mul_f32_e32 v135, 0x3f7e222b, v96
	v_fmac_f32_e32 v113, 0xbeb58ec6, v48
	v_add_f32_e32 v63, v77, v63
	v_mov_b32_e32 v77, v135
	v_add_f32_e32 v112, v113, v112
	v_fmac_f32_e32 v77, 0x3df6dbef, v52
	v_mul_f32_e32 v97, 0x3f7e222b, v97
	v_add_f32_e32 v113, v77, v112
	v_fma_f32 v77, v49, s12, -v97
	v_fmac_f32_e32 v114, 0xbf29c268, v56
	v_add_f32_e32 v112, v77, v63
	v_fmac_f32_e32 v115, 0x3f7e222b, v70
	v_add_f32_e32 v56, v114, v1
	v_fma_f32 v63, v26, s14, -v119
	v_add_f32_e32 v56, v115, v56
	v_fmac_f32_e32 v116, 0xbf52af12, v78
	v_add_f32_e32 v63, v63, v0
	v_fma_f32 v70, v32, s12, -v120
	;; [unrolled: 4-line block ×5, first 2 shown]
	v_add_f32_e32 v63, v70, v63
	v_add_f32_e32 v78, v124, v56
	v_fma_f32 v56, v49, s13, -v125
	v_add_f32_e32 v77, v56, v63
	v_mul_f32_e32 v63, 0xbeb58ec6, v27
	v_add_f32_e32 v63, v104, v63
	v_mul_f32_e32 v70, 0xbf3f9e67, v33
	v_mul_f32_e32 v86, 0xbeb58ec6, v26
	v_add_f32_e32 v70, v105, v70
	v_add_f32_e32 v63, v63, v1
	v_sub_f32_e32 v86, v86, v98
	v_mul_f32_e32 v87, 0xbf3f9e67, v32
	v_add_f32_e32 v63, v70, v63
	v_mul_f32_e32 v70, 0x3f62ad3f, v40
	v_sub_f32_e32 v87, v87, v99
	v_add_f32_e32 v86, v86, v0
	v_add_f32_e32 v70, v106, v70
	;; [unrolled: 1-line block ×3, first 2 shown]
	v_mul_f32_e32 v87, 0x3f62ad3f, v37
	v_add_f32_e32 v63, v70, v63
	v_mul_f32_e32 v70, 0x3df6dbef, v44
	v_sub_f32_e32 v87, v87, v100
	v_add_f32_e32 v70, v107, v70
	v_add_f32_e32 v86, v87, v86
	v_mul_f32_e32 v87, 0x3df6dbef, v41
	v_add_f32_e32 v63, v70, v63
	v_mul_f32_e32 v70, 0xbf788fa5, v48
	v_sub_f32_e32 v87, v87, v101
	v_add_f32_e32 v70, v108, v70
	v_add_f32_e32 v86, v87, v86
	v_mul_f32_e32 v87, 0xbf788fa5, v45
	v_add_f32_e32 v63, v70, v63
	v_mul_f32_e32 v70, 0x3f116cb1, v52
	v_sub_f32_e32 v87, v87, v102
	v_add_f32_e32 v70, v109, v70
	v_mul_f32_e32 v98, 0x3df6dbef, v27
	v_add_f32_e32 v86, v87, v86
	v_mul_f32_e32 v87, 0x3f116cb1, v49
	v_sub_f32_e32 v102, v87, v103
	v_add_f32_e32 v87, v70, v63
	v_mul_f32_e32 v70, 0xbf788fa5, v33
	v_add_f32_e32 v95, v95, v98
	v_add_f32_e32 v70, v94, v70
	;; [unrolled: 1-line block ×4, first 2 shown]
	v_mul_f32_e32 v95, 0xbeb58ec6, v40
	v_add_f32_e32 v92, v92, v95
	v_add_f32_e32 v70, v92, v70
	v_mul_f32_e32 v92, 0x3f62ad3f, v44
	v_mul_f32_e32 v79, 0x3df6dbef, v26
	v_add_f32_e32 v91, v91, v92
	v_mul_f32_e32 v63, 0xbf788fa5, v32
	v_add_f32_e32 v70, v91, v70
	v_mul_f32_e32 v91, 0x3f116cb1, v48
	v_sub_f32_e32 v79, v79, v84
	v_add_f32_e32 v90, v90, v91
	v_mul_f32_e32 v91, 0xbeb58ec6, v37
	v_sub_f32_e32 v63, v63, v85
	v_add_f32_e32 v79, v79, v0
	v_mul_f32_e32 v88, 0x3f62ad3f, v27
	v_add_f32_e32 v63, v63, v79
	v_sub_f32_e32 v79, v91, v83
	v_mul_f32_e32 v83, 0x3f62ad3f, v41
	v_mul_f32_e32 v100, 0x3f116cb1, v33
	v_add_f32_e32 v63, v79, v63
	v_sub_f32_e32 v79, v83, v82
	v_add_f32_e32 v38, v38, v88
	v_add_f32_e32 v3, v3, v1
	;; [unrolled: 1-line block ×3, first 2 shown]
	v_mul_f32_e32 v94, 0x3df6dbef, v40
	v_add_f32_e32 v63, v79, v63
	v_mul_f32_e32 v79, 0x3f116cb1, v45
	v_add_f32_e32 v38, v38, v1
	v_add_f32_e32 v42, v42, v100
	;; [unrolled: 1-line block ×5, first 2 shown]
	v_mul_f32_e32 v90, 0xbf3f9e67, v52
	v_mul_f32_e32 v84, 0xbeb58ec6, v44
	v_sub_f32_e32 v79, v79, v80
	v_add_f32_e32 v38, v42, v38
	v_add_f32_e32 v42, v46, v94
	;; [unrolled: 1-line block ×5, first 2 shown]
	v_mul_f32_e32 v82, 0xbf3f9e67, v48
	v_add_f32_e32 v63, v79, v63
	v_mul_f32_e32 v79, 0xbf3f9e67, v49
	v_add_f32_e32 v38, v42, v38
	v_add_f32_e32 v42, v50, v84
	;; [unrolled: 1-line block ×4, first 2 shown]
	v_mul_f32_e32 v56, 0x3f62ad3f, v26
	v_mul_f32_e32 v104, 0x3f116cb1, v27
	v_sub_f32_e32 v79, v79, v81
	v_add_f32_e32 v80, v89, v70
	v_mul_f32_e32 v89, 0xbf788fa5, v52
	v_add_f32_e32 v38, v42, v38
	v_add_f32_e32 v42, v53, v82
	;; [unrolled: 1-line block ×4, first 2 shown]
	v_mul_f32_e32 v96, 0x3f116cb1, v26
	v_mul_f32_e32 v99, 0x3f116cb1, v32
	v_add_f32_e32 v79, v79, v63
	v_add_f32_e32 v63, v66, v104
	;; [unrolled: 1-line block ×4, first 2 shown]
	v_sub_f32_e32 v36, v56, v36
	v_add_f32_e32 v3, v5, v3
	v_add_f32_e32 v2, v4, v2
	v_fma_f32 v4, v27, s15, -v126
	v_mul_f32_e32 v101, 0xbeb58ec6, v32
	v_mul_f32_e32 v103, 0xbeb58ec6, v33
	;; [unrolled: 1-line block ×3, first 2 shown]
	v_add_f32_e32 v63, v63, v1
	v_sub_f32_e32 v57, v96, v57
	v_add_f32_e32 v55, v42, v38
	v_add_f32_e32 v36, v36, v0
	v_sub_f32_e32 v38, v99, v39
	v_add_f32_e32 v3, v7, v3
	v_add_f32_e32 v2, v6, v2
	;; [unrolled: 1-line block ×3, first 2 shown]
	v_fma_f32 v4, v33, s6, -v127
	v_fmac_f32_e32 v131, 0xbf788fa5, v26
	v_mul_f32_e32 v95, 0xbf788fa5, v37
	v_mul_f32_e32 v92, 0xbf788fa5, v40
	;; [unrolled: 1-line block ×3, first 2 shown]
	v_add_f32_e32 v71, v71, v103
	v_add_f32_e32 v57, v57, v0
	v_sub_f32_e32 v61, v101, v61
	v_add_f32_e32 v36, v38, v36
	v_sub_f32_e32 v38, v98, v43
	v_add_f32_e32 v3, v21, v3
	v_add_f32_e32 v2, v20, v2
	;; [unrolled: 1-line block ×3, first 2 shown]
	v_fma_f32 v4, v40, s14, -v128
	v_add_f32_e32 v0, v131, v0
	v_fmac_f32_e32 v132, 0x3f62ad3f, v32
	v_add_f32_e32 v86, v102, v86
	v_mul_f32_e32 v85, 0xbf3f9e67, v41
	v_mul_f32_e32 v102, 0xbf3f9e67, v44
	;; [unrolled: 1-line block ×3, first 2 shown]
	v_add_f32_e32 v63, v71, v63
	v_add_f32_e32 v71, v73, v92
	;; [unrolled: 1-line block ×3, first 2 shown]
	v_sub_f32_e32 v61, v95, v62
	v_add_f32_e32 v36, v38, v36
	v_sub_f32_e32 v38, v90, v47
	v_add_f32_e32 v3, v23, v3
	v_add_f32_e32 v2, v22, v2
	v_add_f32_e32 v1, v4, v1
	v_fma_f32 v4, v44, s7, -v129
	v_add_f32_e32 v0, v132, v0
	v_fmac_f32_e32 v133, 0xbf3f9e67, v37
	v_mul_f32_e32 v83, 0x3df6dbef, v45
	v_mul_f32_e32 v81, 0x3df6dbef, v48
	;; [unrolled: 1-line block ×3, first 2 shown]
	v_add_f32_e32 v63, v71, v63
	v_add_f32_e32 v71, v74, v102
	;; [unrolled: 1-line block ×3, first 2 shown]
	v_sub_f32_e32 v61, v85, v64
	v_add_f32_e32 v36, v38, v36
	v_sub_f32_e32 v38, v91, v51
	v_add_f32_e32 v3, v17, v3
	v_add_f32_e32 v2, v16, v2
	;; [unrolled: 1-line block ×3, first 2 shown]
	v_fma_f32 v4, v48, s13, -v130
	v_add_f32_e32 v0, v133, v0
	v_fmac_f32_e32 v134, 0x3f116cb1, v41
	v_mul_f32_e32 v66, 0x3f62ad3f, v49
	v_mul_f32_e32 v103, 0x3f62ad3f, v52
	v_add_f32_e32 v63, v71, v63
	v_add_f32_e32 v71, v75, v81
	v_add_f32_e32 v57, v61, v57
	v_sub_f32_e32 v61, v83, v65
	v_add_f32_e32 v36, v38, v36
	v_sub_f32_e32 v38, v70, v54
	v_add_f32_e32 v3, v19, v3
	v_add_f32_e32 v2, v18, v2
	;; [unrolled: 1-line block ×3, first 2 shown]
	v_fma_f32 v4, v52, s12, -v135
	v_add_f32_e32 v0, v134, v0
	v_fmac_f32_e32 v93, 0xbeb58ec6, v45
	v_add_f32_e32 v63, v71, v63
	v_add_f32_e32 v71, v76, v103
	v_add_f32_e32 v57, v61, v57
	v_sub_f32_e32 v61, v66, v72
	v_add_f32_e32 v54, v38, v36
	v_add_f32_e32 v3, v25, v3
	;; [unrolled: 1-line block ×5, first 2 shown]
	v_fmac_f32_e32 v97, 0x3df6dbef, v49
	v_lshlrev_b32_e32 v4, 3, v69
	v_add_f32_e32 v63, v71, v63
	v_add_f32_e32 v62, v61, v57
	;; [unrolled: 1-line block ×3, first 2 shown]
	ds_write2_b64 v4, v[2:3], v[54:55] offset1:1
	ds_write2_b64 v4, v[62:63], v[79:80] offset0:2 offset1:3
	ds_write2_b64 v4, v[86:87], v[77:78] offset0:4 offset1:5
	;; [unrolled: 1-line block ×5, first 2 shown]
	ds_write_b64 v4, v[59:60] offset:96
.LBB0_7:
	s_or_b64 exec, exec, s[4:5]
	s_load_dwordx4 s[4:7], s[0:1], 0x0
	s_movk_i32 s0, 0x4f
	v_mul_lo_u16_sdwa v0, v68, s0 dst_sel:DWORD dst_unused:UNUSED_PAD src0_sel:BYTE_0 src1_sel:DWORD
	v_lshrrev_b16_e32 v40, 10, v0
	v_mul_lo_u16_e32 v0, 13, v40
	v_sub_u16_e32 v0, v68, v0
	v_and_b32_e32 v41, 0xff, v0
	v_lshlrev_b32_e32 v16, 6, v41
	s_waitcnt lgkmcnt(0)
	; wave barrier
	s_waitcnt lgkmcnt(0)
	global_load_dwordx4 v[12:15], v16, s[2:3]
	global_load_dwordx4 v[8:11], v16, s[2:3] offset:16
	global_load_dwordx4 v[4:7], v16, s[2:3] offset:32
	;; [unrolled: 1-line block ×3, first 2 shown]
	ds_read2_b64 v[16:19], v67 offset1:52
	ds_read2_b64 v[20:23], v67 offset0:104 offset1:156
	v_add_u32_e32 v53, 0x400, v67
	ds_read_b64 v[32:33], v67 offset:3328
	v_add_u32_e32 v52, 0x800, v67
	ds_read2_b64 v[24:27], v53 offset0:80 offset1:132
	ds_read2_b64 v[36:39], v52 offset0:56 offset1:108
	s_waitcnt lgkmcnt(4)
	v_mov_b32_e32 v42, v16
	v_mov_b32_e32 v43, v17
	s_mov_b32 s0, 0xbf248dbb
	v_mul_u32_u24_e32 v40, 0x75, v40
	s_waitcnt lgkmcnt(0)
	; wave barrier
	s_waitcnt vmcnt(3) lgkmcnt(0)
	v_mul_f32_e32 v44, v19, v13
	v_mul_f32_e32 v45, v18, v13
	s_waitcnt vmcnt(2)
	v_mul_f32_e32 v49, v22, v9
	s_waitcnt vmcnt(0)
	v_mul_f32_e32 v63, v33, v3
	v_mul_f32_e32 v64, v32, v3
	;; [unrolled: 1-line block ×13, first 2 shown]
	v_fma_f32 v18, v18, v12, -v44
	v_fmac_f32_e32 v45, v19, v12
	v_fmac_f32_e32 v49, v23, v8
	v_fma_f32 v23, v32, v2, -v63
	v_fmac_f32_e32 v64, v33, v2
	v_fma_f32 v19, v20, v14, -v46
	;; [unrolled: 2-line block ×3, first 2 shown]
	v_fma_f32 v44, v24, v10, -v50
	v_fmac_f32_e32 v51, v25, v10
	v_fma_f32 v46, v26, v4, -v54
	v_fmac_f32_e32 v55, v27, v4
	;; [unrolled: 2-line block ×4, first 2 shown]
	v_add_f32_e32 v38, v18, v23
	v_add_f32_e32 v39, v45, v64
	v_sub_f32_e32 v36, v18, v23
	v_sub_f32_e32 v37, v45, v64
	v_add_f32_e32 v48, v19, v22
	v_add_f32_e32 v50, v47, v62
	;; [unrolled: 1-line block ×4, first 2 shown]
	v_sub_f32_e32 v45, v19, v22
	v_sub_f32_e32 v47, v47, v62
	;; [unrolled: 1-line block ×6, first 2 shown]
	v_mul_f32_e32 v20, 0x3f248dbb, v36
	v_mul_f32_e32 v21, 0x3f248dbb, v37
	v_fmac_f32_e32 v42, 0x3f441b7d, v38
	v_fmac_f32_e32 v43, 0x3f441b7d, v39
	v_add_f32_e32 v63, v44, v46
	v_add_f32_e32 v64, v51, v55
	v_fmac_f32_e32 v20, 0x3f7c1c5c, v45
	v_fmac_f32_e32 v21, 0x3f7c1c5c, v47
	;; [unrolled: 1-line block ×4, first 2 shown]
	v_add_f32_e32 v24, v57, v36
	v_add_f32_e32 v25, v62, v37
	;; [unrolled: 1-line block ×4, first 2 shown]
	v_fmac_f32_e32 v20, 0x3f5db3d7, v61
	v_fmac_f32_e32 v21, 0x3f5db3d7, v49
	v_fmac_f32_e32 v42, -0.5, v54
	v_fmac_f32_e32 v43, -0.5, v56
	v_sub_f32_e32 v26, v24, v45
	v_sub_f32_e32 v27, v25, v47
	v_add_f32_e32 v24, v54, v16
	v_add_f32_e32 v25, v56, v17
	;; [unrolled: 1-line block ×4, first 2 shown]
	v_fmac_f32_e32 v20, 0x3eaf1d44, v57
	v_fmac_f32_e32 v21, 0x3eaf1d44, v62
	;; [unrolled: 1-line block ×4, first 2 shown]
	v_fmac_f32_e32 v24, -0.5, v70
	v_fmac_f32_e32 v25, -0.5, v71
	v_add_f32_e32 v18, v21, v42
	v_sub_f32_e32 v19, v43, v20
	v_mul_f32_e32 v42, 0x3f5db3d7, v26
	v_mul_f32_e32 v43, 0x3f5db3d7, v27
	v_fmac_f32_e32 v24, 0x3f5db3d7, v27
	v_fmac_f32_e32 v25, 0xbf5db3d7, v26
	v_fma_f32 v26, -2.0, v43, v24
	v_fma_f32 v27, 2.0, v42, v25
	v_mul_f32_e32 v42, 0x3f7c1c5c, v57
	v_mul_f32_e32 v43, 0x3f7c1c5c, v62
	v_fma_f32 v42, v45, s0, -v42
	v_fma_f32 v43, v47, s0, -v43
	v_mul_f32_e32 v23, 0xbf248dbb, v57
	v_mul_f32_e32 v22, 0xbf248dbb, v62
	v_fmac_f32_e32 v42, 0x3f5db3d7, v61
	v_fmac_f32_e32 v43, 0x3f5db3d7, v49
	;; [unrolled: 1-line block ×6, first 2 shown]
	v_add_f32_e32 v36, v54, v65
	v_add_f32_e32 v37, v56, v66
	;; [unrolled: 1-line block ×6, first 2 shown]
	v_fma_f32 v32, -2.0, v21, v18
	v_fma_f32 v33, 2.0, v20, v19
	v_mov_b32_e32 v20, v16
	v_mov_b32_e32 v21, v17
	v_add_f32_e32 v36, v36, v16
	v_add_f32_e32 v37, v37, v17
	v_fmac_f32_e32 v16, 0x3f441b7d, v48
	v_fmac_f32_e32 v17, 0x3f441b7d, v50
	v_fmac_f32_e32 v20, 0x3f441b7d, v63
	v_fmac_f32_e32 v21, 0x3f441b7d, v64
	v_fmac_f32_e32 v16, 0x3e31d0d4, v63
	v_fmac_f32_e32 v17, 0x3e31d0d4, v64
	v_fmac_f32_e32 v20, 0x3e31d0d4, v38
	v_fmac_f32_e32 v21, 0x3e31d0d4, v39
	v_fmac_f32_e32 v16, -0.5, v54
	v_fmac_f32_e32 v17, -0.5, v56
	v_fmac_f32_e32 v23, 0xbf5db3d7, v61
	v_fmac_f32_e32 v22, 0xbf5db3d7, v49
	v_fmac_f32_e32 v20, -0.5, v54
	v_fmac_f32_e32 v21, -0.5, v56
	v_fmac_f32_e32 v16, 0xbf708fb2, v38
	v_fmac_f32_e32 v17, 0xbf708fb2, v39
	;; [unrolled: 1-line block ×6, first 2 shown]
	v_add_f32_e32 v16, v43, v16
	v_sub_f32_e32 v17, v17, v42
	v_add_f32_e32 v20, v22, v20
	v_sub_f32_e32 v21, v21, v23
	v_fma_f32 v38, -2.0, v43, v16
	v_fma_f32 v39, 2.0, v42, v17
	v_add_lshl_u32 v70, v40, v41, 3
	v_fma_f32 v22, -2.0, v22, v20
	v_fma_f32 v23, 2.0, v23, v21
	ds_write2_b64 v70, v[36:37], v[18:19] offset1:13
	ds_write2_b64 v70, v[20:21], v[24:25] offset0:26 offset1:39
	ds_write2_b64 v70, v[16:17], v[38:39] offset0:52 offset1:65
	;; [unrolled: 1-line block ×3, first 2 shown]
	ds_write_b64 v70, v[32:33] offset:832
	s_waitcnt lgkmcnt(0)
	; wave barrier
	s_waitcnt lgkmcnt(0)
	ds_read2_b64 v[36:39], v67 offset1:52
	ds_read2_b64 v[40:43], v67 offset0:117 offset1:169
	ds_read2_b64 v[44:47], v53 offset0:106 offset1:158
	;; [unrolled: 1-line block ×3, first 2 shown]
	v_cmp_gt_u16_e64 s[0:1], 13, v68
	s_and_saveexec_b64 s[12:13], s[0:1]
	s_cbranch_execz .LBB0_9
; %bb.8:
	ds_read2_b64 v[32:35], v67 offset0:104 offset1:221
	ds_read2_b64 v[28:31], v52 offset0:82 offset1:199
.LBB0_9:
	s_or_b64 exec, exec, s[12:13]
	v_mad_u64_u32 v[16:17], s[12:13], v68, 24, s[2:3]
	v_add_u32_e32 v18, 0x68, v68
	v_add_u32_e32 v19, -13, v68
	v_cndmask_b32_e64 v18, v19, v18, s[0:1]
	global_load_dwordx2 v[63:64], v[16:17], off offset:848
	global_load_dwordx4 v[20:23], v[16:17], off offset:832
	global_load_dwordx2 v[65:66], v[16:17], off offset:2096
	global_load_dwordx4 v[24:27], v[16:17], off offset:2080
	v_mul_i32_i24_e32 v16, 24, v18
	v_mov_b32_e32 v55, s3
	v_mul_hi_i32_i24_e32 v19, 24, v18
	v_add_co_u32_e64 v54, s[2:3], s2, v16
	v_addc_co_u32_e64 v55, s[2:3], v55, v19, s[2:3]
	global_load_dwordx4 v[16:19], v[54:55], off offset:832
	global_load_dwordx2 v[61:62], v[54:55], off offset:848
	s_waitcnt vmcnt(5) lgkmcnt(0)
	v_mul_f32_e32 v71, v49, v64
	s_waitcnt vmcnt(4)
	v_mul_f32_e32 v54, v41, v21
	v_mul_f32_e32 v55, v40, v21
	v_mul_f32_e32 v56, v45, v23
	v_mul_f32_e32 v57, v44, v23
	v_mul_f32_e32 v72, v48, v64
	s_waitcnt vmcnt(2)
	v_mul_f32_e32 v73, v43, v25
	v_mul_f32_e32 v74, v42, v25
	;; [unrolled: 1-line block ×6, first 2 shown]
	s_waitcnt vmcnt(1)
	v_mul_f32_e32 v79, v35, v17
	v_mul_f32_e32 v82, v28, v19
	s_waitcnt vmcnt(0)
	v_mul_f32_e32 v83, v31, v62
	v_mul_f32_e32 v84, v30, v62
	v_fma_f32 v40, v40, v20, -v54
	v_fmac_f32_e32 v55, v41, v20
	v_fma_f32 v41, v44, v22, -v56
	v_fmac_f32_e32 v57, v45, v22
	v_fma_f32 v44, v48, v63, -v71
	v_fmac_f32_e32 v72, v49, v63
	v_fma_f32 v42, v42, v24, -v73
	v_fmac_f32_e32 v74, v43, v24
	v_fma_f32 v43, v46, v26, -v75
	v_fmac_f32_e32 v76, v47, v26
	v_fma_f32 v45, v50, v65, -v77
	v_fmac_f32_e32 v78, v51, v65
	v_mul_f32_e32 v80, v34, v17
	v_mul_f32_e32 v81, v29, v19
	v_fma_f32 v46, v34, v16, -v79
	v_fmac_f32_e32 v82, v29, v18
	v_fma_f32 v47, v30, v61, -v83
	v_fmac_f32_e32 v84, v31, v61
	v_sub_f32_e32 v29, v36, v41
	v_sub_f32_e32 v31, v37, v57
	;; [unrolled: 1-line block ×8, first 2 shown]
	v_fmac_f32_e32 v80, v35, v16
	v_fma_f32 v28, v28, v18, -v81
	v_sub_f32_e32 v56, v33, v82
	v_fma_f32 v48, v37, 2.0, -v31
	v_fma_f32 v37, v55, 2.0, -v34
	;; [unrolled: 1-line block ×4, first 2 shown]
	v_sub_f32_e32 v54, v32, v28
	v_fma_f32 v28, v36, 2.0, -v29
	v_fma_f32 v36, v40, 2.0, -v30
	;; [unrolled: 1-line block ×4, first 2 shown]
	v_sub_f32_e32 v38, v41, v45
	v_fma_f32 v45, v33, 2.0, -v56
	v_sub_f32_e32 v33, v48, v37
	v_sub_f32_e32 v37, v49, v50
	;; [unrolled: 1-line block ×5, first 2 shown]
	v_add_f32_e32 v39, v43, v44
	v_fma_f32 v44, v32, 2.0, -v54
	v_sub_f32_e32 v32, v28, v36
	v_sub_f32_e32 v36, v40, v42
	v_fma_f32 v42, v41, 2.0, -v38
	v_fma_f32 v41, v49, 2.0, -v37
	;; [unrolled: 1-line block ×4, first 2 shown]
	v_add_f32_e32 v35, v31, v30
	v_fma_f32 v30, v29, 2.0, -v34
	v_fma_f32 v29, v48, 2.0, -v33
	v_sub_f32_e32 v48, v44, v46
	v_sub_f32_e32 v49, v45, v49
	;; [unrolled: 1-line block ×3, first 2 shown]
	v_add_f32_e32 v51, v56, v47
	v_fma_f32 v31, v31, 2.0, -v35
	v_fma_f32 v43, v43, 2.0, -v39
	;; [unrolled: 1-line block ×8, first 2 shown]
	ds_write2_b64 v67, v[28:29], v[40:41] offset1:52
	ds_write2_b64 v67, v[30:31], v[42:43] offset0:117 offset1:169
	ds_write2_b64 v53, v[32:33], v[36:37] offset0:106 offset1:158
	;; [unrolled: 1-line block ×3, first 2 shown]
	s_and_saveexec_b64 s[2:3], s[0:1]
	s_cbranch_execz .LBB0_11
; %bb.10:
	v_add_u32_e32 v52, 0x800, v67
	ds_write2_b64 v67, v[44:45], v[46:47] offset0:104 offset1:221
	ds_write2_b64 v52, v[48:49], v[50:51] offset0:82 offset1:199
.LBB0_11:
	s_or_b64 exec, exec, s[2:3]
	s_waitcnt lgkmcnt(0)
	; wave barrier
	s_waitcnt lgkmcnt(0)
	s_and_saveexec_b64 s[2:3], vcc
	s_cbranch_execz .LBB0_13
; %bb.12:
	global_load_dwordx2 v[52:53], v67, s[8:9] offset:3744
	s_add_u32 s12, s8, 0xea0
	s_addc_u32 s13, s9, 0
	global_load_dwordx2 v[56:57], v67, s[12:13] offset:288
	global_load_dwordx2 v[91:92], v67, s[12:13] offset:576
	;; [unrolled: 1-line block ×12, first 2 shown]
	ds_read_b64 v[54:55], v67
	v_add_u32_e32 v114, 0x400, v67
	v_add_u32_e32 v115, 0x800, v67
	s_waitcnt vmcnt(12) lgkmcnt(0)
	v_mul_f32_e32 v71, v55, v53
	v_mul_f32_e32 v72, v54, v53
	v_fma_f32 v71, v54, v52, -v71
	v_fmac_f32_e32 v72, v55, v52
	ds_write_b64 v67, v[71:72]
	ds_read2_b64 v[52:55], v67 offset0:36 offset1:72
	ds_read2_b64 v[71:74], v67 offset0:108 offset1:144
	ds_read2_b64 v[75:78], v67 offset0:180 offset1:216
	ds_read2_b64 v[79:82], v114 offset0:124 offset1:160
	ds_read2_b64 v[83:86], v115 offset0:68 offset1:104
	ds_read2_b64 v[87:90], v115 offset0:140 offset1:176
	s_waitcnt vmcnt(11) lgkmcnt(5)
	v_mul_f32_e32 v116, v53, v57
	v_mul_f32_e32 v113, v52, v57
	s_waitcnt vmcnt(10)
	v_mul_f32_e32 v117, v55, v92
	v_mul_f32_e32 v57, v54, v92
	s_waitcnt vmcnt(9) lgkmcnt(4)
	v_mul_f32_e32 v118, v72, v94
	v_mul_f32_e32 v92, v71, v94
	s_waitcnt vmcnt(8)
	v_mul_f32_e32 v119, v74, v96
	v_mul_f32_e32 v94, v73, v96
	;; [unrolled: 6-line block ×6, first 2 shown]
	v_fma_f32 v112, v52, v56, -v116
	v_fmac_f32_e32 v113, v53, v56
	v_fma_f32 v56, v54, v91, -v117
	v_fmac_f32_e32 v57, v55, v91
	v_fma_f32 v91, v71, v93, -v118
	v_fmac_f32_e32 v92, v72, v93
	v_fma_f32 v93, v73, v95, -v119
	v_fmac_f32_e32 v94, v74, v95
	v_fma_f32 v95, v75, v97, -v120
	v_fmac_f32_e32 v96, v76, v97
	v_fma_f32 v97, v77, v99, -v121
	v_fmac_f32_e32 v98, v78, v99
	v_fma_f32 v99, v79, v101, -v122
	v_fmac_f32_e32 v100, v80, v101
	v_fma_f32 v101, v81, v103, -v123
	v_fmac_f32_e32 v102, v82, v103
	v_fma_f32 v103, v83, v105, -v124
	v_fmac_f32_e32 v104, v84, v105
	v_fma_f32 v105, v85, v107, -v125
	v_fmac_f32_e32 v106, v86, v107
	v_fma_f32 v107, v87, v109, -v126
	v_fmac_f32_e32 v108, v88, v109
	v_fma_f32 v109, v89, v111, -v127
	v_fmac_f32_e32 v110, v90, v111
	ds_write2_b64 v67, v[112:113], v[56:57] offset0:36 offset1:72
	ds_write2_b64 v67, v[91:92], v[93:94] offset0:108 offset1:144
	ds_write2_b64 v67, v[95:96], v[97:98] offset0:180 offset1:216
	ds_write2_b64 v114, v[99:100], v[101:102] offset0:124 offset1:160
	ds_write2_b64 v115, v[103:104], v[105:106] offset0:68 offset1:104
	ds_write2_b64 v115, v[107:108], v[109:110] offset0:140 offset1:176
.LBB0_13:
	s_or_b64 exec, exec, s[2:3]
	s_waitcnt lgkmcnt(0)
	; wave barrier
	s_waitcnt lgkmcnt(0)
	s_and_saveexec_b64 s[2:3], vcc
	s_cbranch_execz .LBB0_15
; %bb.14:
	ds_read2_b64 v[28:31], v67 offset1:36
	ds_read2_b64 v[32:35], v67 offset0:72 offset1:108
	ds_read2_b64 v[40:43], v67 offset0:144 offset1:180
	;; [unrolled: 1-line block ×3, first 2 shown]
	v_add_u32_e32 v48, 0x800, v67
	ds_read2_b64 v[44:47], v48 offset0:32 offset1:68
	ds_read2_b64 v[48:51], v48 offset0:104 offset1:140
	ds_read_b64 v[59:60], v67 offset:3456
.LBB0_15:
	s_or_b64 exec, exec, s[2:3]
	s_waitcnt lgkmcnt(0)
	v_sub_f32_e32 v80, v31, v60
	v_add_f32_e32 v71, v59, v30
	v_add_f32_e32 v82, v60, v31
	s_mov_b32 s12, 0x3f116cb1
	v_mul_f32_e32 v86, 0xbf52af12, v80
	v_sub_f32_e32 v84, v33, v51
	v_mul_f32_e32 v89, 0x3f116cb1, v82
	v_fma_f32 v52, v71, s12, -v86
	s_mov_b32 s14, 0xbeb58ec6
	v_add_f32_e32 v73, v50, v32
	v_add_f32_e32 v87, v51, v33
	v_mul_f32_e32 v90, 0xbf6f5d39, v84
	v_sub_f32_e32 v72, v30, v59
	v_add_f32_e32 v52, v28, v52
	v_mov_b32_e32 v53, v89
	v_mul_f32_e32 v94, 0xbeb58ec6, v87
	v_fma_f32 v75, v73, s14, -v90
	v_fmac_f32_e32 v53, 0xbf52af12, v72
	s_mov_b32 s13, 0x3df6dbef
	v_mul_f32_e32 v93, 0xbf7e222b, v80
	v_sub_f32_e32 v74, v32, v50
	v_add_f32_e32 v52, v75, v52
	v_mov_b32_e32 v75, v94
	v_add_f32_e32 v53, v29, v53
	v_mul_f32_e32 v95, 0x3df6dbef, v82
	v_fma_f32 v54, v71, s13, -v93
	v_fmac_f32_e32 v75, 0xbf6f5d39, v74
	v_mul_f32_e32 v99, 0xbe750f2a, v84
	v_add_f32_e32 v54, v28, v54
	v_mov_b32_e32 v55, v95
	v_add_f32_e32 v53, v75, v53
	v_mul_f32_e32 v102, 0xbf788fa5, v87
	v_fma_f32 v75, v73, s15, -v99
	v_fmac_f32_e32 v55, 0xbf7e222b, v72
	v_mul_f32_e32 v101, 0xbf6f5d39, v80
	v_add_f32_e32 v54, v75, v54
	v_mov_b32_e32 v75, v102
	v_add_f32_e32 v55, v29, v55
	v_mul_f32_e32 v106, 0xbeb58ec6, v82
	v_fma_f32 v56, v71, s14, -v101
	v_fmac_f32_e32 v75, 0xbe750f2a, v74
	s_mov_b32 s16, 0xbf3f9e67
	v_mul_f32_e32 v109, 0x3f29c268, v84
	v_add_f32_e32 v56, v28, v56
	v_mov_b32_e32 v57, v106
	v_add_f32_e32 v55, v75, v55
	v_mul_f32_e32 v113, 0xbf3f9e67, v87
	v_fma_f32 v75, v73, s16, -v109
	v_fmac_f32_e32 v57, 0xbf6f5d39, v72
	v_add_f32_e32 v56, v75, v56
	v_mov_b32_e32 v75, v113
	v_add_f32_e32 v57, v29, v57
	v_fmac_f32_e32 v75, 0x3f29c268, v74
	v_sub_f32_e32 v88, v35, v49
	v_add_f32_e32 v57, v75, v57
	v_add_f32_e32 v75, v48, v34
	;; [unrolled: 1-line block ×3, first 2 shown]
	v_mul_f32_e32 v96, 0xbe750f2a, v88
	v_mul_f32_e32 v100, 0xbf788fa5, v91
	v_fma_f32 v77, v75, s15, -v96
	v_sub_f32_e32 v76, v34, v48
	v_add_f32_e32 v52, v77, v52
	v_mov_b32_e32 v77, v100
	v_fmac_f32_e32 v77, 0xbe750f2a, v76
	v_mul_f32_e32 v107, 0x3f6f5d39, v88
	v_add_f32_e32 v53, v77, v53
	v_mul_f32_e32 v110, 0xbeb58ec6, v91
	v_fma_f32 v77, v75, s14, -v107
	v_add_f32_e32 v54, v77, v54
	v_mov_b32_e32 v77, v110
	v_fmac_f32_e32 v77, 0x3f6f5d39, v76
	s_mov_b32 s17, 0x3f62ad3f
	v_mul_f32_e32 v116, 0x3eedf032, v88
	v_add_f32_e32 v55, v77, v55
	v_mul_f32_e32 v119, 0x3f62ad3f, v91
	v_fma_f32 v77, v75, s17, -v116
	v_add_f32_e32 v56, v77, v56
	v_mov_b32_e32 v77, v119
	v_fmac_f32_e32 v77, 0x3eedf032, v76
	v_sub_f32_e32 v92, v41, v47
	v_add_f32_e32 v57, v77, v57
	v_add_f32_e32 v77, v46, v40
	;; [unrolled: 1-line block ×3, first 2 shown]
	v_mul_f32_e32 v104, 0x3f29c268, v92
	v_mul_f32_e32 v108, 0xbf3f9e67, v98
	v_fma_f32 v79, v77, s16, -v104
	v_sub_f32_e32 v78, v40, v46
	v_add_f32_e32 v52, v79, v52
	v_mov_b32_e32 v79, v108
	v_fmac_f32_e32 v79, 0x3f29c268, v78
	v_mul_f32_e32 v114, 0x3eedf032, v92
	v_add_f32_e32 v53, v79, v53
	v_mul_f32_e32 v117, 0x3f62ad3f, v98
	v_fma_f32 v79, v77, s17, -v114
	v_add_f32_e32 v54, v79, v54
	v_mov_b32_e32 v79, v117
	v_fmac_f32_e32 v79, 0x3eedf032, v78
	v_mul_f32_e32 v122, 0xbf7e222b, v92
	v_add_f32_e32 v55, v79, v55
	v_mul_f32_e32 v124, 0x3df6dbef, v98
	v_fma_f32 v79, v77, s13, -v122
	v_add_f32_e32 v56, v79, v56
	v_mov_b32_e32 v79, v124
	v_fmac_f32_e32 v79, 0xbf7e222b, v78
	v_sub_f32_e32 v97, v43, v45
	v_add_f32_e32 v57, v79, v57
	v_add_f32_e32 v79, v44, v42
	;; [unrolled: 1-line block ×3, first 2 shown]
	v_mul_f32_e32 v112, 0x3f7e222b, v97
	v_mul_f32_e32 v115, 0x3df6dbef, v105
	v_fma_f32 v83, v79, s13, -v112
	v_sub_f32_e32 v81, v42, v44
	v_add_f32_e32 v52, v83, v52
	v_mov_b32_e32 v83, v115
	v_fmac_f32_e32 v83, 0x3f7e222b, v81
	v_mul_f32_e32 v120, 0xbf52af12, v97
	v_add_f32_e32 v53, v83, v53
	v_mul_f32_e32 v123, 0x3f116cb1, v105
	v_fma_f32 v83, v79, s12, -v120
	v_add_f32_e32 v54, v83, v54
	v_mov_b32_e32 v83, v123
	v_fmac_f32_e32 v83, 0xbf52af12, v81
	v_mul_f32_e32 v126, 0x3e750f2a, v97
	v_add_f32_e32 v55, v83, v55
	v_mul_f32_e32 v128, 0xbf788fa5, v105
	v_fma_f32 v83, v79, s15, -v126
	v_add_f32_e32 v131, v83, v56
	v_mov_b32_e32 v56, v128
	v_sub_f32_e32 v103, v37, v39
	v_fmac_f32_e32 v56, 0x3e750f2a, v81
	v_add_f32_e32 v83, v38, v36
	v_add_f32_e32 v111, v39, v37
	v_mul_f32_e32 v118, 0x3eedf032, v103
	v_add_f32_e32 v132, v56, v57
	v_mul_f32_e32 v121, 0x3f62ad3f, v111
	v_fma_f32 v56, v83, s17, -v118
	v_sub_f32_e32 v85, v36, v38
	v_add_f32_e32 v56, v56, v52
	v_mov_b32_e32 v52, v121
	v_fmac_f32_e32 v52, 0x3eedf032, v85
	v_mul_f32_e32 v125, 0xbf29c268, v103
	v_add_f32_e32 v57, v52, v53
	v_mul_f32_e32 v127, 0xbf3f9e67, v111
	v_fma_f32 v52, v83, s16, -v125
	v_add_f32_e32 v54, v52, v54
	v_mov_b32_e32 v52, v127
	v_mul_f32_e32 v130, 0x3f116cb1, v111
	v_fmac_f32_e32 v52, 0xbf29c268, v85
	v_mul_f32_e32 v129, 0x3f52af12, v103
	v_mov_b32_e32 v53, v130
	v_add_f32_e32 v55, v52, v55
	v_fma_f32 v52, v83, s12, -v129
	v_fmac_f32_e32 v53, 0x3f52af12, v85
	v_add_f32_e32 v52, v52, v131
	v_add_f32_e32 v53, v53, v132
	s_waitcnt lgkmcnt(0)
	; wave barrier
	s_and_saveexec_b64 s[2:3], vcc
	s_cbranch_execz .LBB0_17
; %bb.16:
	v_mul_f32_e32 v142, 0xbf6f5d39, v72
	v_mul_f32_e32 v148, 0x3f29c268, v74
	v_sub_f32_e32 v106, v106, v142
	v_mul_f32_e32 v154, 0x3eedf032, v76
	v_add_f32_e32 v106, v29, v106
	v_sub_f32_e32 v113, v113, v148
	v_mul_f32_e32 v160, 0xbf7e222b, v78
	v_add_f32_e32 v106, v113, v106
	;; [unrolled: 3-line block ×3, first 2 shown]
	v_sub_f32_e32 v113, v124, v160
	v_mul_f32_e32 v141, 0xbeb58ec6, v71
	v_mul_f32_e32 v172, 0x3f52af12, v85
	v_add_f32_e32 v106, v113, v106
	v_sub_f32_e32 v113, v128, v166
	v_mul_f32_e32 v147, 0xbf3f9e67, v73
	v_mul_f32_e32 v135, 0xbf29c268, v72
	v_add_f32_e32 v106, v113, v106
	v_sub_f32_e32 v113, v130, v172
	v_add_f32_e32 v101, v141, v101
	v_mul_f32_e32 v153, 0x3f62ad3f, v75
	v_mov_b32_e32 v131, v135
	v_mul_f32_e32 v136, 0x3f7e222b, v74
	v_add_f32_e32 v130, v113, v106
	v_add_f32_e32 v101, v28, v101
	;; [unrolled: 1-line block ×3, first 2 shown]
	v_mul_f32_e32 v159, 0x3df6dbef, v77
	v_fmac_f32_e32 v131, 0xbf3f9e67, v82
	v_mov_b32_e32 v132, v136
	v_add_f32_e32 v101, v106, v101
	v_add_f32_e32 v106, v153, v116
	v_mul_f32_e32 v165, 0xbf788fa5, v79
	v_add_f32_e32 v131, v29, v131
	v_fmac_f32_e32 v132, 0x3df6dbef, v87
	v_mul_f32_e32 v173, 0xbf52af12, v76
	v_add_f32_e32 v101, v106, v101
	v_add_f32_e32 v106, v159, v122
	v_mul_f32_e32 v140, 0xbf7e222b, v72
	v_mul_f32_e32 v171, 0x3f116cb1, v83
	v_add_f32_e32 v131, v132, v131
	v_mov_b32_e32 v132, v173
	v_add_f32_e32 v101, v106, v101
	v_add_f32_e32 v106, v165, v126
	v_mul_f32_e32 v146, 0xbe750f2a, v74
	v_fmac_f32_e32 v132, 0x3f116cb1, v91
	v_mul_f32_e32 v174, 0x3e750f2a, v78
	v_add_f32_e32 v101, v106, v101
	v_add_f32_e32 v106, v171, v129
	v_sub_f32_e32 v95, v95, v140
	v_mul_f32_e32 v152, 0x3f6f5d39, v76
	v_add_f32_e32 v131, v132, v131
	v_mov_b32_e32 v132, v174
	v_add_f32_e32 v129, v106, v101
	v_add_f32_e32 v95, v29, v95
	v_sub_f32_e32 v101, v102, v146
	v_mul_f32_e32 v158, 0x3eedf032, v78
	v_fmac_f32_e32 v132, 0xbf788fa5, v98
	v_mul_f32_e32 v175, 0x3eedf032, v81
	v_add_f32_e32 v95, v101, v95
	v_sub_f32_e32 v101, v110, v152
	v_mul_f32_e32 v164, 0xbf52af12, v81
	v_add_f32_e32 v131, v132, v131
	v_mov_b32_e32 v132, v175
	v_add_f32_e32 v95, v101, v95
	v_sub_f32_e32 v101, v117, v158
	v_mul_f32_e32 v139, 0x3df6dbef, v71
	v_mul_f32_e32 v170, 0xbf29c268, v85
	v_fmac_f32_e32 v132, 0x3f62ad3f, v105
	v_mul_f32_e32 v176, 0xbf6f5d39, v85
	v_add_f32_e32 v95, v101, v95
	v_sub_f32_e32 v101, v123, v164
	v_mul_f32_e32 v145, 0xbf788fa5, v73
	v_add_f32_e32 v131, v132, v131
	v_mov_b32_e32 v132, v176
	v_add_f32_e32 v95, v101, v95
	v_sub_f32_e32 v101, v127, v170
	v_add_f32_e32 v93, v139, v93
	v_mul_f32_e32 v151, 0xbeb58ec6, v75
	v_fmac_f32_e32 v132, 0xbeb58ec6, v111
	v_mul_f32_e32 v177, 0xbf29c268, v80
	v_add_f32_e32 v102, v101, v95
	v_add_f32_e32 v93, v28, v93
	v_add_f32_e32 v95, v145, v99
	v_mul_f32_e32 v157, 0x3f62ad3f, v77
	v_add_f32_e32 v132, v132, v131
	v_fma_f32 v131, v71, s16, -v177
	v_mul_f32_e32 v178, 0x3f7e222b, v84
	v_add_f32_e32 v93, v95, v93
	v_add_f32_e32 v95, v151, v107
	v_mul_f32_e32 v163, 0x3f116cb1, v79
	v_add_f32_e32 v131, v28, v131
	v_fma_f32 v133, v73, s13, -v178
	v_mul_f32_e32 v179, 0xbf52af12, v88
	v_add_f32_e32 v93, v95, v93
	v_add_f32_e32 v95, v157, v114
	v_mul_f32_e32 v138, 0xbf52af12, v72
	v_mul_f32_e32 v169, 0xbf3f9e67, v83
	v_add_f32_e32 v131, v133, v131
	v_fma_f32 v133, v75, s12, -v179
	v_mul_f32_e32 v180, 0x3e750f2a, v92
	v_add_f32_e32 v93, v95, v93
	v_add_f32_e32 v95, v163, v120
	v_mul_f32_e32 v144, 0xbf6f5d39, v74
	v_add_f32_e32 v131, v133, v131
	v_fma_f32 v133, v77, s15, -v180
	v_mul_f32_e32 v181, 0x3eedf032, v97
	v_add_f32_e32 v93, v95, v93
	v_add_f32_e32 v95, v169, v125
	v_sub_f32_e32 v89, v89, v138
	v_mul_f32_e32 v150, 0xbe750f2a, v76
	v_add_f32_e32 v131, v133, v131
	v_fma_f32 v133, v79, s17, -v181
	v_mul_f32_e32 v182, 0xbf6f5d39, v103
	v_add_f32_e32 v101, v95, v93
	v_add_f32_e32 v89, v29, v89
	v_sub_f32_e32 v93, v94, v144
	v_mul_f32_e32 v156, 0x3f29c268, v78
	v_add_f32_e32 v131, v133, v131
	v_fma_f32 v133, v83, s14, -v182
	v_mul_f32_e32 v183, 0xbf788fa5, v82
	v_add_f32_e32 v89, v93, v89
	v_sub_f32_e32 v93, v100, v150
	v_mul_f32_e32 v162, 0x3f7e222b, v81
	v_add_f32_e32 v131, v133, v131
	v_mov_b32_e32 v133, v183
	v_mul_f32_e32 v184, 0x3f62ad3f, v87
	v_add_f32_e32 v89, v93, v89
	v_sub_f32_e32 v93, v108, v156
	v_mul_f32_e32 v137, 0x3f116cb1, v71
	v_mul_f32_e32 v168, 0x3eedf032, v85
	v_fmac_f32_e32 v133, 0x3e750f2a, v72
	v_mov_b32_e32 v134, v184
	v_add_f32_e32 v89, v93, v89
	v_sub_f32_e32 v93, v115, v162
	v_mul_f32_e32 v143, 0xbeb58ec6, v73
	v_add_f32_e32 v133, v29, v133
	v_fmac_f32_e32 v134, 0xbeedf032, v74
	v_mul_f32_e32 v185, 0xbf3f9e67, v91
	v_add_f32_e32 v89, v93, v89
	v_sub_f32_e32 v93, v121, v168
	v_add_f32_e32 v86, v137, v86
	v_mul_f32_e32 v149, 0xbf788fa5, v75
	v_add_f32_e32 v133, v134, v133
	v_mov_b32_e32 v134, v185
	v_add_f32_e32 v94, v93, v89
	v_add_f32_e32 v86, v28, v86
	;; [unrolled: 1-line block ×3, first 2 shown]
	v_mul_f32_e32 v155, 0xbf3f9e67, v77
	v_fmac_f32_e32 v134, 0x3f29c268, v76
	v_mul_f32_e32 v186, 0x3f116cb1, v98
	v_add_f32_e32 v86, v89, v86
	v_add_f32_e32 v89, v149, v96
	v_mul_f32_e32 v161, 0x3df6dbef, v79
	v_add_f32_e32 v133, v134, v133
	v_mov_b32_e32 v134, v186
	v_add_f32_e32 v86, v89, v86
	v_add_f32_e32 v89, v155, v104
	v_mul_f32_e32 v167, 0x3f62ad3f, v83
	v_fmac_f32_e32 v134, 0xbf52af12, v78
	v_mul_f32_e32 v187, 0xbeb58ec6, v105
	v_add_f32_e32 v86, v89, v86
	v_add_f32_e32 v89, v161, v112
	;; [unrolled: 1-line block ×3, first 2 shown]
	v_mov_b32_e32 v134, v187
	v_fma_f32 v135, v82, s16, -v135
	v_add_f32_e32 v86, v89, v86
	v_add_f32_e32 v89, v167, v118
	v_mul_f32_e32 v82, 0x3f62ad3f, v82
	v_fmac_f32_e32 v134, 0x3f6f5d39, v81
	v_mul_f32_e32 v188, 0x3df6dbef, v111
	v_add_f32_e32 v93, v89, v86
	v_mov_b32_e32 v86, v82
	v_mul_f32_e32 v89, 0x3f116cb1, v87
	v_add_f32_e32 v133, v134, v133
	v_mov_b32_e32 v134, v188
	v_fma_f32 v136, v87, s13, -v136
	v_fmac_f32_e32 v86, 0x3eedf032, v72
	v_mov_b32_e32 v87, v89
	v_fmac_f32_e32 v134, 0xbf7e222b, v85
	v_mul_f32_e32 v189, 0xbe750f2a, v80
	v_add_f32_e32 v86, v29, v86
	v_fmac_f32_e32 v87, 0x3f52af12, v74
	v_mul_f32_e32 v90, 0x3df6dbef, v91
	v_add_f32_e32 v134, v134, v133
	v_mov_b32_e32 v133, v189
	v_mul_f32_e32 v190, 0x3eedf032, v84
	v_add_f32_e32 v135, v29, v135
	v_add_f32_e32 v86, v87, v86
	v_mov_b32_e32 v87, v90
	v_fmac_f32_e32 v133, 0xbf788fa5, v71
	v_mov_b32_e32 v191, v190
	v_add_f32_e32 v135, v136, v135
	v_fma_f32 v136, v91, s12, -v173
	v_fmac_f32_e32 v87, 0x3f7e222b, v76
	v_mul_f32_e32 v91, 0xbeb58ec6, v98
	v_add_f32_e32 v133, v28, v133
	v_fmac_f32_e32 v191, 0x3f62ad3f, v73
	v_add_f32_e32 v86, v87, v86
	v_mov_b32_e32 v87, v91
	v_add_f32_e32 v30, v30, v28
	v_fmac_f32_e32 v183, 0xbe750f2a, v72
	v_add_f32_e32 v133, v191, v133
	v_mul_f32_e32 v191, 0xbf29c268, v88
	v_fmac_f32_e32 v87, 0x3f6f5d39, v78
	v_mul_f32_e32 v95, 0xbf3f9e67, v105
	v_add_f32_e32 v30, v32, v30
	v_add_f32_e32 v32, v29, v183
	v_fmac_f32_e32 v184, 0x3eedf032, v74
	v_mov_b32_e32 v192, v191
	v_add_f32_e32 v86, v87, v86
	v_mov_b32_e32 v87, v95
	v_add_f32_e32 v32, v184, v32
	v_fmac_f32_e32 v185, 0xbf29c268, v76
	v_fmac_f32_e32 v192, 0xbf3f9e67, v75
	;; [unrolled: 1-line block ×3, first 2 shown]
	v_mul_f32_e32 v96, 0xbf788fa5, v111
	v_add_f32_e32 v32, v185, v32
	v_fmac_f32_e32 v186, 0x3f52af12, v78
	v_add_f32_e32 v133, v192, v133
	v_mul_f32_e32 v192, 0x3f52af12, v92
	v_add_f32_e32 v86, v87, v86
	v_mov_b32_e32 v87, v96
	v_add_f32_e32 v32, v186, v32
	v_fmac_f32_e32 v187, 0xbf6f5d39, v81
	v_mov_b32_e32 v193, v192
	v_fmac_f32_e32 v87, 0x3e750f2a, v85
	v_mul_f32_e32 v80, 0xbeedf032, v80
	v_add_f32_e32 v31, v31, v29
	v_add_f32_e32 v32, v187, v32
	v_fmac_f32_e32 v188, 0x3f7e222b, v85
	v_fmac_f32_e32 v193, 0x3f116cb1, v77
	v_add_f32_e32 v87, v87, v86
	v_mov_b32_e32 v86, v80
	v_mul_f32_e32 v84, 0xbf52af12, v84
	v_add_f32_e32 v31, v33, v31
	v_add_f32_e32 v33, v188, v32
	v_fma_f32 v32, v71, s15, -v189
	v_add_f32_e32 v133, v193, v133
	v_mul_f32_e32 v193, 0xbf6f5d39, v97
	v_add_f32_e32 v135, v136, v135
	v_fma_f32 v136, v98, s15, -v174
	v_fmac_f32_e32 v86, 0x3f62ad3f, v71
	v_mov_b32_e32 v98, v84
	v_add_f32_e32 v30, v34, v30
	v_add_f32_e32 v32, v28, v32
	v_fma_f32 v34, v73, s17, -v190
	v_mov_b32_e32 v194, v193
	v_add_f32_e32 v86, v28, v86
	v_fmac_f32_e32 v98, 0x3f116cb1, v73
	v_mul_f32_e32 v88, 0xbf7e222b, v88
	v_add_f32_e32 v32, v34, v32
	v_fma_f32 v34, v75, s16, -v191
	v_fmac_f32_e32 v194, 0xbeb58ec6, v79
	v_add_f32_e32 v86, v98, v86
	v_mov_b32_e32 v98, v88
	v_add_f32_e32 v31, v35, v31
	v_add_f32_e32 v32, v34, v32
	v_fma_f32 v34, v77, s12, -v192
	v_add_f32_e32 v133, v194, v133
	v_mul_f32_e32 v194, 0x3f7e222b, v103
	v_fmac_f32_e32 v98, 0x3df6dbef, v75
	v_mul_f32_e32 v92, 0xbf6f5d39, v92
	v_add_f32_e32 v31, v41, v31
	v_add_f32_e32 v30, v40, v30
	;; [unrolled: 1-line block ×3, first 2 shown]
	v_fma_f32 v34, v79, s14, -v193
	v_add_f32_e32 v135, v136, v135
	v_fma_f32 v136, v105, s17, -v175
	v_add_f32_e32 v86, v98, v86
	v_mov_b32_e32 v98, v92
	v_add_f32_e32 v31, v43, v31
	v_add_f32_e32 v30, v42, v30
	;; [unrolled: 1-line block ×3, first 2 shown]
	v_fma_f32 v34, v83, s13, -v194
	v_add_f32_e32 v135, v136, v135
	v_fma_f32 v136, v111, s14, -v176
	v_fmac_f32_e32 v177, 0xbf3f9e67, v71
	v_fmac_f32_e32 v98, 0xbeb58ec6, v77
	v_mul_f32_e32 v97, 0xbf29c268, v97
	v_add_f32_e32 v31, v37, v31
	v_add_f32_e32 v30, v36, v30
	;; [unrolled: 1-line block ×3, first 2 shown]
	v_fma_f32 v34, v71, s17, -v80
	v_add_f32_e32 v136, v136, v135
	v_add_f32_e32 v135, v28, v177
	;; [unrolled: 1-line block ×3, first 2 shown]
	v_mov_b32_e32 v98, v97
	v_add_f32_e32 v31, v39, v31
	v_add_f32_e32 v30, v38, v30
	v_fmac_f32_e32 v82, 0xbeedf032, v72
	v_add_f32_e32 v28, v28, v34
	v_fma_f32 v34, v73, s12, -v84
	v_fmac_f32_e32 v178, 0x3df6dbef, v73
	v_fmac_f32_e32 v98, 0xbf3f9e67, v79
	v_add_f32_e32 v31, v45, v31
	v_add_f32_e32 v30, v44, v30
	;; [unrolled: 1-line block ×3, first 2 shown]
	v_fmac_f32_e32 v89, 0xbf52af12, v74
	v_add_f32_e32 v28, v34, v28
	v_fma_f32 v34, v75, s13, -v88
	v_add_f32_e32 v135, v178, v135
	v_fmac_f32_e32 v179, 0x3f116cb1, v75
	v_add_f32_e32 v86, v98, v86
	v_mul_f32_e32 v98, 0xbe750f2a, v103
	v_add_f32_e32 v31, v47, v31
	v_add_f32_e32 v30, v46, v30
	;; [unrolled: 1-line block ×3, first 2 shown]
	v_fmac_f32_e32 v90, 0xbf7e222b, v76
	v_add_f32_e32 v28, v34, v28
	v_fma_f32 v34, v77, s14, -v92
	v_add_f32_e32 v135, v179, v135
	v_fmac_f32_e32 v180, 0xbf788fa5, v77
	v_mov_b32_e32 v99, v98
	v_add_f32_e32 v31, v49, v31
	v_add_f32_e32 v30, v48, v30
	;; [unrolled: 1-line block ×3, first 2 shown]
	v_fmac_f32_e32 v91, 0xbf6f5d39, v78
	v_add_f32_e32 v28, v34, v28
	v_fma_f32 v34, v79, s16, -v97
	v_mov_b32_e32 v195, v194
	v_add_f32_e32 v135, v180, v135
	v_fmac_f32_e32 v181, 0x3f62ad3f, v79
	v_fmac_f32_e32 v99, 0xbf788fa5, v83
	v_add_f32_e32 v31, v51, v31
	v_add_f32_e32 v30, v50, v30
	;; [unrolled: 1-line block ×3, first 2 shown]
	v_fmac_f32_e32 v95, 0xbf29c268, v81
	v_add_f32_e32 v28, v34, v28
	v_fma_f32 v34, v83, s15, -v98
	v_fmac_f32_e32 v195, 0x3df6dbef, v83
	v_add_f32_e32 v135, v181, v135
	v_fmac_f32_e32 v182, 0xbeb58ec6, v83
	v_add_f32_e32 v86, v99, v86
	v_add_f32_e32 v31, v60, v31
	;; [unrolled: 1-line block ×4, first 2 shown]
	v_fmac_f32_e32 v96, 0xbe750f2a, v85
	v_add_f32_e32 v28, v34, v28
	v_lshlrev_b32_e32 v34, 3, v69
	v_add_f32_e32 v133, v195, v133
	v_add_f32_e32 v135, v182, v135
	;; [unrolled: 1-line block ×3, first 2 shown]
	ds_write2_b64 v34, v[30:31], v[86:87] offset1:1
	ds_write2_b64 v34, v[93:94], v[101:102] offset0:2 offset1:3
	ds_write2_b64 v34, v[129:130], v[135:136] offset0:4 offset1:5
	;; [unrolled: 1-line block ×5, first 2 shown]
	ds_write_b64 v34, v[28:29] offset:96
.LBB0_17:
	s_or_b64 exec, exec, s[2:3]
	s_waitcnt lgkmcnt(0)
	; wave barrier
	s_waitcnt lgkmcnt(0)
	ds_read2_b64 v[30:33], v67 offset1:52
	ds_read2_b64 v[34:37], v67 offset0:104 offset1:156
	v_add_u32_e32 v28, 0x400, v67
	ds_read2_b64 v[38:41], v28 offset0:80 offset1:132
	v_add_u32_e32 v29, 0x800, v67
	ds_read2_b64 v[42:45], v29 offset0:56 offset1:108
	ds_read_b64 v[46:47], v67 offset:3328
	s_waitcnt lgkmcnt(4)
	v_mul_f32_e32 v48, v13, v33
	v_mul_f32_e32 v13, v13, v32
	v_fmac_f32_e32 v48, v12, v32
	v_fma_f32 v12, v12, v33, -v13
	s_waitcnt lgkmcnt(3)
	v_mul_f32_e32 v13, v15, v35
	v_mul_f32_e32 v15, v15, v34
	v_fmac_f32_e32 v13, v14, v34
	v_fma_f32 v14, v14, v35, -v15
	v_mul_f32_e32 v15, v9, v37
	v_mul_f32_e32 v9, v9, v36
	v_fmac_f32_e32 v15, v8, v36
	v_fma_f32 v8, v8, v37, -v9
	s_waitcnt lgkmcnt(2)
	v_mul_f32_e32 v32, v11, v39
	v_mul_f32_e32 v9, v11, v38
	;; [unrolled: 1-line block ×4, first 2 shown]
	v_fmac_f32_e32 v11, v4, v40
	v_fma_f32 v33, v4, v41, -v5
	s_waitcnt lgkmcnt(1)
	v_mul_f32_e32 v4, v7, v43
	v_mul_f32_e32 v5, v7, v42
	v_fmac_f32_e32 v4, v6, v42
	v_fma_f32 v5, v6, v43, -v5
	v_mul_f32_e32 v6, v1, v45
	v_mul_f32_e32 v1, v1, v44
	v_fmac_f32_e32 v6, v0, v44
	v_fma_f32 v0, v0, v45, -v1
	s_waitcnt lgkmcnt(0)
	v_mul_f32_e32 v1, v3, v47
	v_mul_f32_e32 v3, v3, v46
	v_fmac_f32_e32 v1, v2, v46
	v_fma_f32 v2, v2, v47, -v3
	v_fmac_f32_e32 v32, v10, v38
	v_fma_f32 v10, v10, v39, -v9
	v_add_f32_e32 v35, v12, v2
	v_sub_f32_e32 v12, v12, v2
	v_add_f32_e32 v37, v14, v0
	v_sub_f32_e32 v14, v14, v0
	v_mul_f32_e32 v3, 0x3f248dbb, v12
	v_sub_f32_e32 v43, v10, v33
	v_add_f32_e32 v38, v15, v4
	v_sub_f32_e32 v40, v48, v1
	v_sub_f32_e32 v15, v15, v4
	;; [unrolled: 1-line block ×3, first 2 shown]
	v_fmac_f32_e32 v3, 0x3f7c1c5c, v14
	v_mul_f32_e32 v4, 0xbf248dbb, v43
	v_add_f32_e32 v34, v48, v1
	v_add_f32_e32 v36, v13, v6
	v_sub_f32_e32 v13, v13, v6
	v_mul_f32_e32 v2, 0x3f248dbb, v40
	v_fmac_f32_e32 v3, 0x3f5db3d7, v41
	v_sub_f32_e32 v42, v32, v11
	v_mov_b32_e32 v0, v30
	v_mov_b32_e32 v1, v31
	v_fmac_f32_e32 v4, 0x3f7c1c5c, v12
	v_add_f32_e32 v39, v8, v5
	v_fmac_f32_e32 v2, 0x3f7c1c5c, v13
	v_fmac_f32_e32 v3, 0x3eaf1d44, v43
	;; [unrolled: 1-line block ×4, first 2 shown]
	s_mov_b32 s2, 0xbf248dbb
	v_mul_f32_e32 v5, 0xbf248dbb, v42
	v_fmac_f32_e32 v4, 0xbf5db3d7, v41
	v_add_f32_e32 v7, v43, v12
	v_mul_f32_e32 v43, 0x3f7c1c5c, v43
	v_fmac_f32_e32 v2, 0x3f5db3d7, v15
	v_fmac_f32_e32 v0, 0x3e31d0d4, v36
	;; [unrolled: 1-line block ×5, first 2 shown]
	v_sub_f32_e32 v9, v7, v14
	v_fma_f32 v14, v14, s2, -v43
	v_fmac_f32_e32 v2, 0x3eaf1d44, v42
	v_fmac_f32_e32 v0, -0.5, v38
	v_fmac_f32_e32 v1, -0.5, v39
	v_add_f32_e32 v44, v32, v11
	v_add_f32_e32 v45, v10, v33
	v_fmac_f32_e32 v5, 0xbf5db3d7, v15
	v_add_f32_e32 v6, v42, v40
	v_add_f32_e32 v48, v36, v34
	;; [unrolled: 1-line block ×3, first 2 shown]
	v_mul_f32_e32 v42, 0x3f7c1c5c, v42
	v_fmac_f32_e32 v14, 0x3f5db3d7, v41
	v_fmac_f32_e32 v0, 0xbf708fb2, v44
	;; [unrolled: 1-line block ×4, first 2 shown]
	v_sub_f32_e32 v8, v6, v13
	v_fma_f32 v42, v13, s2, -v42
	v_fmac_f32_e32 v14, 0x3eaf1d44, v12
	v_add_f32_e32 v12, v38, v48
	v_add_f32_e32 v13, v39, v49
	v_sub_f32_e32 v0, v0, v3
	v_add_f32_e32 v1, v2, v1
	v_add_f32_e32 v12, v32, v12
	;; [unrolled: 1-line block ×3, first 2 shown]
	v_fma_f32 v50, 2.0, v3, v0
	v_fma_f32 v51, -2.0, v2, v1
	v_mov_b32_e32 v2, v30
	v_mov_b32_e32 v3, v31
	v_add_f32_e32 v11, v11, v12
	v_add_f32_e32 v12, v33, v10
	v_fmac_f32_e32 v2, 0x3f441b7d, v44
	v_fmac_f32_e32 v3, 0x3f441b7d, v45
	v_add_f32_e32 v6, v38, v30
	v_add_f32_e32 v7, v39, v31
	;; [unrolled: 1-line block ×4, first 2 shown]
	v_fmac_f32_e32 v30, 0x3f441b7d, v36
	v_fmac_f32_e32 v31, 0x3f441b7d, v37
	;; [unrolled: 1-line block ×6, first 2 shown]
	v_fmac_f32_e32 v2, -0.5, v38
	v_fmac_f32_e32 v3, -0.5, v39
	v_add_f32_e32 v59, v44, v48
	v_add_f32_e32 v60, v45, v49
	v_fmac_f32_e32 v42, 0x3f5db3d7, v15
	v_fmac_f32_e32 v30, -0.5, v38
	v_fmac_f32_e32 v31, -0.5, v39
	v_fmac_f32_e32 v2, 0xbf708fb2, v36
	v_fmac_f32_e32 v3, 0xbf708fb2, v37
	v_fmac_f32_e32 v6, -0.5, v59
	v_fmac_f32_e32 v7, -0.5, v60
	v_fmac_f32_e32 v42, 0x3eaf1d44, v40
	v_fmac_f32_e32 v30, 0xbf708fb2, v34
	;; [unrolled: 1-line block ×3, first 2 shown]
	v_sub_f32_e32 v2, v2, v4
	v_add_f32_e32 v3, v5, v3
	v_mul_f32_e32 v46, 0x3f5db3d7, v8
	v_mul_f32_e32 v47, 0x3f5db3d7, v9
	v_fmac_f32_e32 v6, 0xbf5db3d7, v9
	v_fmac_f32_e32 v7, 0x3f5db3d7, v8
	v_sub_f32_e32 v12, v30, v14
	v_add_f32_e32 v13, v42, v31
	v_fma_f32 v4, 2.0, v4, v2
	v_fma_f32 v5, -2.0, v5, v3
	v_fma_f32 v8, 2.0, v47, v6
	v_fma_f32 v9, -2.0, v46, v7
	;; [unrolled: 2-line block ×3, first 2 shown]
	s_waitcnt lgkmcnt(0)
	; wave barrier
	ds_write2_b64 v70, v[10:11], v[0:1] offset1:13
	ds_write2_b64 v70, v[2:3], v[6:7] offset0:26 offset1:39
	ds_write2_b64 v70, v[12:13], v[14:15] offset0:52 offset1:65
	;; [unrolled: 1-line block ×3, first 2 shown]
	ds_write_b64 v70, v[50:51] offset:832
	s_waitcnt lgkmcnt(0)
	; wave barrier
	s_waitcnt lgkmcnt(0)
	ds_read2_b64 v[0:3], v67 offset1:52
	ds_read2_b64 v[12:15], v67 offset0:117 offset1:169
	ds_read2_b64 v[8:11], v28 offset0:106 offset1:158
	;; [unrolled: 1-line block ×3, first 2 shown]
	s_and_saveexec_b64 s[2:3], s[0:1]
	s_cbranch_execz .LBB0_19
; %bb.18:
	ds_read2_b64 v[50:53], v67 offset0:104 offset1:221
	ds_read2_b64 v[54:57], v29 offset0:82 offset1:199
.LBB0_19:
	s_or_b64 exec, exec, s[2:3]
	s_waitcnt lgkmcnt(2)
	v_mul_f32_e32 v30, v21, v13
	v_fmac_f32_e32 v30, v20, v12
	v_mul_f32_e32 v12, v21, v12
	v_fma_f32 v12, v20, v13, -v12
	s_waitcnt lgkmcnt(1)
	v_mul_f32_e32 v13, v23, v9
	v_fmac_f32_e32 v13, v22, v8
	v_mul_f32_e32 v8, v23, v8
	v_fma_f32 v8, v22, v9, -v8
	;; [unrolled: 5-line block ×3, first 2 shown]
	v_mul_f32_e32 v20, v25, v15
	v_mul_f32_e32 v5, v25, v14
	v_fmac_f32_e32 v20, v24, v14
	v_fma_f32 v14, v24, v15, -v5
	v_mul_f32_e32 v15, v27, v11
	v_mul_f32_e32 v5, v27, v10
	v_fmac_f32_e32 v15, v26, v10
	v_fma_f32 v10, v26, v11, -v5
	v_mul_f32_e32 v5, v66, v6
	v_mul_f32_e32 v11, v66, v7
	v_fma_f32 v21, v65, v7, -v5
	v_sub_f32_e32 v13, v0, v13
	v_sub_f32_e32 v22, v1, v8
	v_sub_f32_e32 v7, v30, v9
	v_sub_f32_e32 v8, v12, v4
	v_fmac_f32_e32 v11, v65, v6
	v_fma_f32 v5, v0, 2.0, -v13
	v_fma_f32 v6, v1, 2.0, -v22
	;; [unrolled: 1-line block ×4, first 2 shown]
	v_sub_f32_e32 v0, v5, v0
	v_sub_f32_e32 v1, v6, v1
	v_fma_f32 v4, v5, 2.0, -v0
	v_fma_f32 v5, v6, 2.0, -v1
	v_add_f32_e32 v6, v13, v8
	v_sub_f32_e32 v7, v22, v7
	v_fma_f32 v8, v13, 2.0, -v6
	v_fma_f32 v9, v22, 2.0, -v7
	v_sub_f32_e32 v15, v2, v15
	v_sub_f32_e32 v22, v3, v10
	v_sub_f32_e32 v13, v20, v11
	v_sub_f32_e32 v21, v14, v21
	v_fma_f32 v10, v2, 2.0, -v15
	v_fma_f32 v12, v3, 2.0, -v22
	;; [unrolled: 1-line block ×4, first 2 shown]
	v_sub_f32_e32 v2, v10, v2
	v_sub_f32_e32 v3, v12, v3
	v_fma_f32 v10, v10, 2.0, -v2
	v_fma_f32 v11, v12, 2.0, -v3
	v_add_f32_e32 v12, v15, v21
	v_sub_f32_e32 v13, v22, v13
	v_fma_f32 v14, v15, 2.0, -v12
	v_fma_f32 v15, v22, 2.0, -v13
	ds_write2_b64 v67, v[4:5], v[10:11] offset1:52
	ds_write2_b64 v67, v[8:9], v[14:15] offset0:117 offset1:169
	ds_write2_b64 v28, v[0:1], v[2:3] offset0:106 offset1:158
	;; [unrolled: 1-line block ×3, first 2 shown]
	s_and_saveexec_b64 s[2:3], s[0:1]
	s_cbranch_execz .LBB0_21
; %bb.20:
	v_mul_f32_e32 v0, v19, v54
	v_fma_f32 v0, v18, v55, -v0
	v_sub_f32_e32 v4, v51, v0
	v_mul_f32_e32 v6, v17, v53
	v_mul_f32_e32 v0, v62, v57
	v_fmac_f32_e32 v6, v16, v52
	v_fmac_f32_e32 v0, v61, v56
	v_sub_f32_e32 v8, v6, v0
	v_mul_f32_e32 v0, v19, v55
	v_fmac_f32_e32 v0, v18, v54
	v_sub_f32_e32 v9, v50, v0
	v_mul_f32_e32 v0, v17, v52
	v_fma_f32 v5, v16, v53, -v0
	v_mul_f32_e32 v0, v62, v56
	v_fma_f32 v0, v61, v57, -v0
	v_sub_f32_e32 v1, v4, v8
	v_sub_f32_e32 v7, v5, v0
	v_fma_f32 v3, v4, 2.0, -v1
	v_fma_f32 v4, v51, 2.0, -v4
	v_fma_f32 v5, v5, 2.0, -v7
	v_add_f32_e32 v0, v9, v7
	v_sub_f32_e32 v5, v4, v5
	v_fma_f32 v2, v9, 2.0, -v0
	v_fma_f32 v7, v4, 2.0, -v5
	;; [unrolled: 1-line block ×4, first 2 shown]
	v_sub_f32_e32 v4, v9, v4
	v_fma_f32 v6, v9, 2.0, -v4
	ds_write2_b64 v67, v[6:7], v[2:3] offset0:104 offset1:221
	v_add_u32_e32 v2, 0x800, v67
	ds_write2_b64 v2, v[4:5], v[0:1] offset0:82 offset1:199
.LBB0_21:
	s_or_b64 exec, exec, s[2:3]
	s_waitcnt lgkmcnt(0)
	; wave barrier
	s_waitcnt lgkmcnt(0)
	s_and_b64 exec, exec, vcc
	s_cbranch_execz .LBB0_23
; %bb.22:
	global_load_dwordx2 v[8:9], v67, s[8:9]
	global_load_dwordx2 v[10:11], v67, s[8:9] offset:288
	global_load_dwordx2 v[12:13], v67, s[8:9] offset:576
	;; [unrolled: 1-line block ×4, first 2 shown]
	ds_read_b64 v[18:19], v67
	ds_read2_b64 v[0:3], v67 offset0:36 offset1:72
	ds_read2_b64 v[4:7], v67 offset0:108 offset1:144
	global_load_dwordx2 v[24:25], v67, s[8:9] offset:1440
	global_load_dwordx2 v[26:27], v67, s[8:9] offset:1728
	v_mad_u64_u32 v[20:21], s[0:1], s6, v58, 0
	v_mad_u64_u32 v[22:23], s[2:3], s4, v68, 0
	s_mul_i32 s3, s5, 0x120
	s_mul_hi_u32 s6, s4, 0x120
	s_add_i32 s3, s6, s3
	v_mad_u64_u32 v[28:29], s[6:7], s7, v58, v[21:22]
	s_mul_i32 s2, s4, 0x120
	v_mov_b32_e32 v31, s11
	v_mov_b32_e32 v21, v28
	v_lshlrev_b64 v[20:21], 3, v[20:21]
	v_mov_b32_e32 v32, s3
	v_add_co_u32_e32 v20, vcc, s10, v20
	v_addc_co_u32_e32 v21, vcc, v31, v21, vcc
	s_mov_b32 s0, 0x11811812
	s_mov_b32 s1, 0x3f618118
	v_mov_b32_e32 v36, s3
	s_waitcnt vmcnt(5) lgkmcnt(1)
	v_mul_f32_e32 v31, v1, v11
	v_mul_f32_e32 v11, v0, v11
	s_waitcnt vmcnt(3) lgkmcnt(0)
	v_mul_f32_e32 v33, v5, v15
	v_mul_f32_e32 v15, v4, v15
	v_fmac_f32_e32 v31, v0, v10
	v_fma_f32 v10, v10, v1, -v11
	s_waitcnt vmcnt(1)
	v_mad_u64_u32 v[29:30], s[4:5], s5, v68, v[23:24]
	v_mov_b32_e32 v30, s3
	v_fmac_f32_e32 v33, v4, v14
	v_mov_b32_e32 v23, v29
	v_lshlrev_b64 v[22:23], 3, v[22:23]
	v_fma_f32 v35, v14, v5, -v15
	v_add_co_u32_e32 v20, vcc, v20, v22
	v_addc_co_u32_e32 v21, vcc, v21, v23, vcc
	v_add_co_u32_e32 v22, vcc, s2, v20
	v_addc_co_u32_e32 v23, vcc, v21, v32, vcc
	;; [unrolled: 2-line block ×3, first 2 shown]
	v_mul_f32_e32 v30, v19, v9
	v_mul_f32_e32 v9, v18, v9
	v_fmac_f32_e32 v30, v18, v8
	v_fma_f32 v18, v8, v19, -v9
	global_load_dwordx2 v[8:9], v67, s[8:9] offset:2016
	v_mul_f32_e32 v32, v3, v13
	v_mul_f32_e32 v13, v2, v13
	v_fmac_f32_e32 v32, v2, v12
	v_fma_f32 v19, v12, v3, -v13
	v_cvt_f64_f32_e32 v[0:1], v30
	v_cvt_f64_f32_e32 v[2:3], v18
	;; [unrolled: 1-line block ×6, first 2 shown]
	v_mul_f64 v[0:1], v[0:1], s[0:1]
	v_mul_f64 v[2:3], v[2:3], s[0:1]
	;; [unrolled: 1-line block ×4, first 2 shown]
	v_mul_f32_e32 v34, v7, v17
	v_mul_f64 v[12:13], v[12:13], s[0:1]
	v_mul_f64 v[14:15], v[14:15], s[0:1]
	v_fmac_f32_e32 v34, v6, v16
	v_cvt_f64_f32_e32 v[18:19], v33
	v_cvt_f64_f32_e32 v[30:31], v35
	;; [unrolled: 1-line block ×3, first 2 shown]
	global_load_dwordx2 v[34:35], v67, s[8:9] offset:2304
	v_cvt_f32_f64_e32 v0, v[0:1]
	v_cvt_f32_f64_e32 v1, v[2:3]
	v_cvt_f32_f64_e32 v2, v[4:5]
	v_cvt_f32_f64_e32 v3, v[10:11]
	v_mul_f64 v[18:19], v[18:19], s[0:1]
	v_mul_f64 v[30:31], v[30:31], s[0:1]
	v_cvt_f32_f64_e32 v4, v[12:13]
	v_cvt_f32_f64_e32 v5, v[14:15]
	global_store_dwordx2 v[20:21], v[0:1], off
	global_store_dwordx2 v[22:23], v[2:3], off
	;; [unrolled: 1-line block ×3, first 2 shown]
	global_load_dwordx2 v[4:5], v67, s[8:9] offset:2592
	v_mul_f32_e32 v0, v6, v17
	v_fma_f32 v0, v16, v7, -v0
	v_cvt_f64_f32_e32 v[6:7], v0
	ds_read2_b64 v[0:3], v67 offset0:180 offset1:216
	v_cvt_f32_f64_e32 v10, v[18:19]
	v_cvt_f32_f64_e32 v11, v[30:31]
	v_add_co_u32_e32 v12, vcc, s2, v28
	v_mul_f64 v[6:7], v[6:7], s[0:1]
	v_addc_co_u32_e32 v13, vcc, v29, v36, vcc
	global_store_dwordx2 v[12:13], v[10:11], off
	s_waitcnt lgkmcnt(0)
	v_mul_f32_e32 v11, v1, v25
	v_fmac_f32_e32 v11, v0, v24
	v_cvt_f64_f32_e32 v[14:15], v11
	v_mov_b32_e32 v16, s3
	v_cvt_f32_f64_e32 v11, v[6:7]
	v_add_co_u32_e32 v12, vcc, s2, v12
	v_mul_f64 v[6:7], v[14:15], s[0:1]
	global_load_dwordx2 v[14:15], v67, s[8:9] offset:2880
	v_addc_co_u32_e32 v13, vcc, v13, v16, vcc
	global_load_dwordx2 v[16:17], v67, s[8:9] offset:3168
	v_mul_f32_e32 v0, v0, v25
	v_fma_f32 v0, v24, v1, -v0
	v_cvt_f64_f32_e32 v[0:1], v0
	v_mul_f64 v[32:33], v[32:33], s[0:1]
	v_cvt_f32_f64_e32 v6, v[6:7]
	v_mov_b32_e32 v20, s3
	v_mul_f64 v[0:1], v[0:1], s[0:1]
	v_cvt_f32_f64_e32 v10, v[32:33]
	v_cvt_f32_f64_e32 v7, v[0:1]
	s_waitcnt vmcnt(9)
	v_mul_f32_e32 v0, v3, v27
	v_fmac_f32_e32 v0, v2, v26
	global_store_dwordx2 v[12:13], v[10:11], off
	v_cvt_f64_f32_e32 v[10:11], v0
	v_mul_f32_e32 v0, v2, v27
	v_fma_f32 v0, v26, v3, -v0
	v_cvt_f64_f32_e32 v[18:19], v0
	v_add_u32_e32 v0, 0x400, v67
	ds_read2_b64 v[0:3], v0 offset0:124 offset1:160
	v_add_co_u32_e32 v12, vcc, s2, v12
	v_addc_co_u32_e32 v13, vcc, v13, v20, vcc
	global_store_dwordx2 v[12:13], v[6:7], off
	v_mul_f64 v[6:7], v[10:11], s[0:1]
	v_mul_f64 v[10:11], v[18:19], s[0:1]
	s_waitcnt vmcnt(10) lgkmcnt(0)
	v_mul_f32_e32 v18, v1, v9
	v_fmac_f32_e32 v18, v0, v8
	v_mul_f32_e32 v0, v0, v9
	v_fma_f32 v0, v8, v1, -v0
	v_cvt_f64_f32_e32 v[0:1], v0
	v_cvt_f64_f32_e32 v[18:19], v18
	v_cvt_f32_f64_e32 v6, v[6:7]
	v_cvt_f32_f64_e32 v7, v[10:11]
	v_mul_f64 v[0:1], v[0:1], s[0:1]
	v_mul_f64 v[8:9], v[18:19], s[0:1]
	v_mov_b32_e32 v11, s3
	v_add_co_u32_e32 v10, vcc, s2, v12
	v_addc_co_u32_e32 v11, vcc, v13, v11, vcc
	global_store_dwordx2 v[10:11], v[6:7], off
	v_cvt_f32_f64_e32 v7, v[0:1]
	s_waitcnt vmcnt(10)
	v_mul_f32_e32 v0, v3, v35
	v_fmac_f32_e32 v0, v2, v34
	v_cvt_f32_f64_e32 v6, v[8:9]
	v_cvt_f64_f32_e32 v[8:9], v0
	v_mul_f32_e32 v0, v2, v35
	v_fma_f32 v0, v34, v3, -v0
	v_add_u32_e32 v19, 0x800, v67
	v_cvt_f64_f32_e32 v[12:13], v0
	ds_read2_b64 v[0:3], v19 offset0:68 offset1:104
	v_mov_b32_e32 v18, s3
	v_add_co_u32_e32 v10, vcc, s2, v10
	v_addc_co_u32_e32 v11, vcc, v11, v18, vcc
	global_store_dwordx2 v[10:11], v[6:7], off
	v_mul_f64 v[6:7], v[8:9], s[0:1]
	v_mul_f64 v[8:9], v[12:13], s[0:1]
	s_waitcnt vmcnt(7) lgkmcnt(0)
	v_mul_f32_e32 v12, v1, v5
	v_fmac_f32_e32 v12, v0, v4
	v_mul_f32_e32 v0, v0, v5
	v_fma_f32 v0, v4, v1, -v0
	v_cvt_f64_f32_e32 v[0:1], v0
	v_cvt_f64_f32_e32 v[12:13], v12
	v_cvt_f32_f64_e32 v4, v[6:7]
	v_cvt_f32_f64_e32 v5, v[8:9]
	v_mul_f64 v[0:1], v[0:1], s[0:1]
	v_mul_f64 v[6:7], v[12:13], s[0:1]
	v_mov_b32_e32 v9, s3
	v_add_co_u32_e32 v8, vcc, s2, v10
	v_addc_co_u32_e32 v9, vcc, v11, v9, vcc
	global_store_dwordx2 v[8:9], v[4:5], off
	v_cvt_f32_f64_e32 v5, v[0:1]
	s_waitcnt vmcnt(6)
	v_mul_f32_e32 v0, v3, v15
	v_fmac_f32_e32 v0, v2, v14
	v_cvt_f32_f64_e32 v4, v[6:7]
	v_cvt_f64_f32_e32 v[6:7], v0
	v_mul_f32_e32 v0, v2, v15
	v_fma_f32 v0, v14, v3, -v0
	v_cvt_f64_f32_e32 v[10:11], v0
	ds_read2_b64 v[0:3], v19 offset0:140 offset1:176
	v_mov_b32_e32 v12, s3
	v_add_co_u32_e32 v8, vcc, s2, v8
	v_addc_co_u32_e32 v9, vcc, v9, v12, vcc
	global_store_dwordx2 v[8:9], v[4:5], off
	v_mul_f64 v[4:5], v[6:7], s[0:1]
	v_mul_f64 v[6:7], v[10:11], s[0:1]
	s_waitcnt vmcnt(6) lgkmcnt(0)
	v_mul_f32_e32 v10, v1, v17
	v_fmac_f32_e32 v10, v0, v16
	v_mul_f32_e32 v0, v0, v17
	v_fma_f32 v0, v16, v1, -v0
	v_cvt_f64_f32_e32 v[10:11], v10
	v_cvt_f64_f32_e32 v[0:1], v0
	v_cvt_f32_f64_e32 v4, v[4:5]
	v_cvt_f32_f64_e32 v5, v[6:7]
	v_mul_f64 v[6:7], v[10:11], s[0:1]
	v_mul_f64 v[0:1], v[0:1], s[0:1]
	v_mov_b32_e32 v10, s3
	v_add_co_u32_e32 v8, vcc, s2, v8
	v_addc_co_u32_e32 v9, vcc, v9, v10, vcc
	global_store_dwordx2 v[8:9], v[4:5], off
	v_cvt_f32_f64_e32 v4, v[6:7]
	v_cvt_f32_f64_e32 v5, v[0:1]
	v_mov_b32_e32 v1, s3
	v_add_co_u32_e32 v0, vcc, s2, v8
	v_addc_co_u32_e32 v1, vcc, v9, v1, vcc
	global_store_dwordx2 v[0:1], v[4:5], off
	global_load_dwordx2 v[4:5], v67, s[8:9] offset:3456
	v_add_co_u32_e32 v0, vcc, s2, v0
	s_waitcnt vmcnt(0)
	v_mul_f32_e32 v6, v3, v5
	v_fmac_f32_e32 v6, v2, v4
	v_mul_f32_e32 v2, v2, v5
	v_fma_f32 v2, v4, v3, -v2
	v_cvt_f64_f32_e32 v[6:7], v6
	v_cvt_f64_f32_e32 v[2:3], v2
	v_mul_f64 v[4:5], v[6:7], s[0:1]
	v_mul_f64 v[2:3], v[2:3], s[0:1]
	v_cvt_f32_f64_e32 v4, v[4:5]
	v_cvt_f32_f64_e32 v5, v[2:3]
	v_mov_b32_e32 v2, s3
	v_addc_co_u32_e32 v1, vcc, v1, v2, vcc
	global_store_dwordx2 v[0:1], v[4:5], off
.LBB0_23:
	s_endpgm
	.section	.rodata,"a",@progbits
	.p2align	6, 0x0
	.amdhsa_kernel bluestein_single_fwd_len468_dim1_sp_op_CI_CI
		.amdhsa_group_segment_fixed_size 3744
		.amdhsa_private_segment_fixed_size 0
		.amdhsa_kernarg_size 104
		.amdhsa_user_sgpr_count 6
		.amdhsa_user_sgpr_private_segment_buffer 1
		.amdhsa_user_sgpr_dispatch_ptr 0
		.amdhsa_user_sgpr_queue_ptr 0
		.amdhsa_user_sgpr_kernarg_segment_ptr 1
		.amdhsa_user_sgpr_dispatch_id 0
		.amdhsa_user_sgpr_flat_scratch_init 0
		.amdhsa_user_sgpr_private_segment_size 0
		.amdhsa_uses_dynamic_stack 0
		.amdhsa_system_sgpr_private_segment_wavefront_offset 0
		.amdhsa_system_sgpr_workgroup_id_x 1
		.amdhsa_system_sgpr_workgroup_id_y 0
		.amdhsa_system_sgpr_workgroup_id_z 0
		.amdhsa_system_sgpr_workgroup_info 0
		.amdhsa_system_vgpr_workitem_id 0
		.amdhsa_next_free_vgpr 196
		.amdhsa_next_free_sgpr 18
		.amdhsa_reserve_vcc 1
		.amdhsa_reserve_flat_scratch 0
		.amdhsa_float_round_mode_32 0
		.amdhsa_float_round_mode_16_64 0
		.amdhsa_float_denorm_mode_32 3
		.amdhsa_float_denorm_mode_16_64 3
		.amdhsa_dx10_clamp 1
		.amdhsa_ieee_mode 1
		.amdhsa_fp16_overflow 0
		.amdhsa_exception_fp_ieee_invalid_op 0
		.amdhsa_exception_fp_denorm_src 0
		.amdhsa_exception_fp_ieee_div_zero 0
		.amdhsa_exception_fp_ieee_overflow 0
		.amdhsa_exception_fp_ieee_underflow 0
		.amdhsa_exception_fp_ieee_inexact 0
		.amdhsa_exception_int_div_zero 0
	.end_amdhsa_kernel
	.text
.Lfunc_end0:
	.size	bluestein_single_fwd_len468_dim1_sp_op_CI_CI, .Lfunc_end0-bluestein_single_fwd_len468_dim1_sp_op_CI_CI
                                        ; -- End function
	.section	.AMDGPU.csdata,"",@progbits
; Kernel info:
; codeLenInByte = 12368
; NumSgprs: 22
; NumVgprs: 196
; ScratchSize: 0
; MemoryBound: 0
; FloatMode: 240
; IeeeMode: 1
; LDSByteSize: 3744 bytes/workgroup (compile time only)
; SGPRBlocks: 2
; VGPRBlocks: 48
; NumSGPRsForWavesPerEU: 22
; NumVGPRsForWavesPerEU: 196
; Occupancy: 1
; WaveLimiterHint : 1
; COMPUTE_PGM_RSRC2:SCRATCH_EN: 0
; COMPUTE_PGM_RSRC2:USER_SGPR: 6
; COMPUTE_PGM_RSRC2:TRAP_HANDLER: 0
; COMPUTE_PGM_RSRC2:TGID_X_EN: 1
; COMPUTE_PGM_RSRC2:TGID_Y_EN: 0
; COMPUTE_PGM_RSRC2:TGID_Z_EN: 0
; COMPUTE_PGM_RSRC2:TIDIG_COMP_CNT: 0
	.type	__hip_cuid_faa1f36fc3407b92,@object ; @__hip_cuid_faa1f36fc3407b92
	.section	.bss,"aw",@nobits
	.globl	__hip_cuid_faa1f36fc3407b92
__hip_cuid_faa1f36fc3407b92:
	.byte	0                               ; 0x0
	.size	__hip_cuid_faa1f36fc3407b92, 1

	.ident	"AMD clang version 19.0.0git (https://github.com/RadeonOpenCompute/llvm-project roc-6.4.0 25133 c7fe45cf4b819c5991fe208aaa96edf142730f1d)"
	.section	".note.GNU-stack","",@progbits
	.addrsig
	.addrsig_sym __hip_cuid_faa1f36fc3407b92
	.amdgpu_metadata
---
amdhsa.kernels:
  - .args:
      - .actual_access:  read_only
        .address_space:  global
        .offset:         0
        .size:           8
        .value_kind:     global_buffer
      - .actual_access:  read_only
        .address_space:  global
        .offset:         8
        .size:           8
        .value_kind:     global_buffer
      - .actual_access:  read_only
        .address_space:  global
        .offset:         16
        .size:           8
        .value_kind:     global_buffer
      - .actual_access:  read_only
        .address_space:  global
        .offset:         24
        .size:           8
        .value_kind:     global_buffer
      - .actual_access:  read_only
        .address_space:  global
        .offset:         32
        .size:           8
        .value_kind:     global_buffer
      - .offset:         40
        .size:           8
        .value_kind:     by_value
      - .address_space:  global
        .offset:         48
        .size:           8
        .value_kind:     global_buffer
      - .address_space:  global
        .offset:         56
        .size:           8
        .value_kind:     global_buffer
      - .address_space:  global
        .offset:         64
        .size:           8
        .value_kind:     global_buffer
      - .address_space:  global
        .offset:         72
        .size:           8
        .value_kind:     global_buffer
      - .offset:         80
        .size:           4
        .value_kind:     by_value
      - .address_space:  global
        .offset:         88
        .size:           8
        .value_kind:     global_buffer
      - .address_space:  global
        .offset:         96
        .size:           8
        .value_kind:     global_buffer
    .group_segment_fixed_size: 3744
    .kernarg_segment_align: 8
    .kernarg_segment_size: 104
    .language:       OpenCL C
    .language_version:
      - 2
      - 0
    .max_flat_workgroup_size: 52
    .name:           bluestein_single_fwd_len468_dim1_sp_op_CI_CI
    .private_segment_fixed_size: 0
    .sgpr_count:     22
    .sgpr_spill_count: 0
    .symbol:         bluestein_single_fwd_len468_dim1_sp_op_CI_CI.kd
    .uniform_work_group_size: 1
    .uses_dynamic_stack: false
    .vgpr_count:     196
    .vgpr_spill_count: 0
    .wavefront_size: 64
amdhsa.target:   amdgcn-amd-amdhsa--gfx906
amdhsa.version:
  - 1
  - 2
...

	.end_amdgpu_metadata
